;; amdgpu-corpus repo=ROCm/rocFFT kind=compiled arch=gfx950 opt=O3
	.text
	.amdgcn_target "amdgcn-amd-amdhsa--gfx950"
	.amdhsa_code_object_version 6
	.protected	fft_rtc_fwd_len1904_factors_17_2_2_7_4_wgs_119_tpt_119_halfLds_dp_ip_CI_unitstride_sbrr_dirReg ; -- Begin function fft_rtc_fwd_len1904_factors_17_2_2_7_4_wgs_119_tpt_119_halfLds_dp_ip_CI_unitstride_sbrr_dirReg
	.globl	fft_rtc_fwd_len1904_factors_17_2_2_7_4_wgs_119_tpt_119_halfLds_dp_ip_CI_unitstride_sbrr_dirReg
	.p2align	8
	.type	fft_rtc_fwd_len1904_factors_17_2_2_7_4_wgs_119_tpt_119_halfLds_dp_ip_CI_unitstride_sbrr_dirReg,@function
fft_rtc_fwd_len1904_factors_17_2_2_7_4_wgs_119_tpt_119_halfLds_dp_ip_CI_unitstride_sbrr_dirReg: ; @fft_rtc_fwd_len1904_factors_17_2_2_7_4_wgs_119_tpt_119_halfLds_dp_ip_CI_unitstride_sbrr_dirReg
; %bb.0:
	s_load_dwordx2 s[8:9], s[0:1], 0x50
	s_load_dwordx4 s[4:7], s[0:1], 0x0
	s_load_dwordx2 s[10:11], s[0:1], 0x18
	v_mul_u32_u24_e32 v1, 0x227, v0
	v_add_u32_sdwa v6, s2, v1 dst_sel:DWORD dst_unused:UNUSED_PAD src0_sel:DWORD src1_sel:WORD_1
	v_mov_b32_e32 v4, 0
	s_waitcnt lgkmcnt(0)
	v_cmp_lt_u64_e64 s[2:3], s[6:7], 2
	v_mov_b32_e32 v7, v4
	s_and_b64 vcc, exec, s[2:3]
	v_mov_b64_e32 v[2:3], 0
	s_cbranch_vccnz .LBB0_8
; %bb.1:
	s_load_dwordx2 s[2:3], s[0:1], 0x10
	s_add_u32 s12, s10, 8
	s_addc_u32 s13, s11, 0
	s_mov_b64 s[14:15], 1
	v_mov_b64_e32 v[2:3], 0
	s_waitcnt lgkmcnt(0)
	s_add_u32 s16, s2, 8
	s_addc_u32 s17, s3, 0
.LBB0_2:                                ; =>This Inner Loop Header: Depth=1
	s_load_dwordx2 s[18:19], s[16:17], 0x0
                                        ; implicit-def: $vgpr8_vgpr9
	s_waitcnt lgkmcnt(0)
	v_or_b32_e32 v5, s19, v7
	v_cmp_ne_u64_e32 vcc, 0, v[4:5]
	s_and_saveexec_b64 s[2:3], vcc
	s_xor_b64 s[20:21], exec, s[2:3]
	s_cbranch_execz .LBB0_4
; %bb.3:                                ;   in Loop: Header=BB0_2 Depth=1
	v_cvt_f32_u32_e32 v1, s18
	v_cvt_f32_u32_e32 v5, s19
	s_sub_u32 s2, 0, s18
	s_subb_u32 s3, 0, s19
	v_fmac_f32_e32 v1, 0x4f800000, v5
	v_rcp_f32_e32 v1, v1
	s_nop 0
	v_mul_f32_e32 v1, 0x5f7ffffc, v1
	v_mul_f32_e32 v5, 0x2f800000, v1
	v_trunc_f32_e32 v5, v5
	v_fmac_f32_e32 v1, 0xcf800000, v5
	v_cvt_u32_f32_e32 v5, v5
	v_cvt_u32_f32_e32 v1, v1
	v_mul_lo_u32 v8, s2, v5
	v_mul_hi_u32 v10, s2, v1
	v_mul_lo_u32 v9, s3, v1
	v_add_u32_e32 v10, v10, v8
	v_mul_lo_u32 v12, s2, v1
	v_add_u32_e32 v13, v10, v9
	v_mul_hi_u32 v8, v1, v12
	v_mul_hi_u32 v11, v1, v13
	v_mul_lo_u32 v10, v1, v13
	v_mov_b32_e32 v9, v4
	v_lshl_add_u64 v[8:9], v[8:9], 0, v[10:11]
	v_mul_hi_u32 v11, v5, v12
	v_mul_lo_u32 v12, v5, v12
	v_add_co_u32_e32 v8, vcc, v8, v12
	v_mul_hi_u32 v10, v5, v13
	s_nop 0
	v_addc_co_u32_e32 v8, vcc, v9, v11, vcc
	v_mov_b32_e32 v9, v4
	s_nop 0
	v_addc_co_u32_e32 v11, vcc, 0, v10, vcc
	v_mul_lo_u32 v10, v5, v13
	v_lshl_add_u64 v[8:9], v[8:9], 0, v[10:11]
	v_add_co_u32_e32 v1, vcc, v1, v8
	v_mul_lo_u32 v10, s2, v1
	s_nop 0
	v_addc_co_u32_e32 v5, vcc, v5, v9, vcc
	v_mul_lo_u32 v8, s2, v5
	v_mul_hi_u32 v9, s2, v1
	v_add_u32_e32 v8, v9, v8
	v_mul_lo_u32 v9, s3, v1
	v_add_u32_e32 v12, v8, v9
	v_mul_hi_u32 v14, v5, v10
	v_mul_lo_u32 v15, v5, v10
	v_mul_hi_u32 v9, v1, v12
	v_mul_lo_u32 v8, v1, v12
	v_mul_hi_u32 v10, v1, v10
	v_mov_b32_e32 v11, v4
	v_lshl_add_u64 v[8:9], v[10:11], 0, v[8:9]
	v_add_co_u32_e32 v8, vcc, v8, v15
	v_mul_hi_u32 v13, v5, v12
	s_nop 0
	v_addc_co_u32_e32 v8, vcc, v9, v14, vcc
	v_mul_lo_u32 v10, v5, v12
	s_nop 0
	v_addc_co_u32_e32 v11, vcc, 0, v13, vcc
	v_mov_b32_e32 v9, v4
	v_lshl_add_u64 v[8:9], v[8:9], 0, v[10:11]
	v_add_co_u32_e32 v1, vcc, v1, v8
	v_mul_hi_u32 v10, v6, v1
	s_nop 0
	v_addc_co_u32_e32 v5, vcc, v5, v9, vcc
	v_mad_u64_u32 v[8:9], s[2:3], v6, v5, 0
	v_mov_b32_e32 v11, v4
	v_lshl_add_u64 v[8:9], v[10:11], 0, v[8:9]
	v_mad_u64_u32 v[12:13], s[2:3], v7, v1, 0
	v_add_co_u32_e32 v1, vcc, v8, v12
	v_mad_u64_u32 v[10:11], s[2:3], v7, v5, 0
	s_nop 0
	v_addc_co_u32_e32 v8, vcc, v9, v13, vcc
	v_mov_b32_e32 v9, v4
	s_nop 0
	v_addc_co_u32_e32 v11, vcc, 0, v11, vcc
	v_lshl_add_u64 v[8:9], v[8:9], 0, v[10:11]
	v_mul_lo_u32 v1, s19, v8
	v_mul_lo_u32 v5, s18, v9
	v_mad_u64_u32 v[10:11], s[2:3], s18, v8, 0
	v_add3_u32 v1, v11, v5, v1
	v_sub_u32_e32 v5, v7, v1
	v_mov_b32_e32 v11, s19
	v_sub_co_u32_e32 v14, vcc, v6, v10
	v_lshl_add_u64 v[12:13], v[8:9], 0, 1
	s_nop 0
	v_subb_co_u32_e64 v5, s[2:3], v5, v11, vcc
	v_subrev_co_u32_e64 v10, s[2:3], s18, v14
	v_subb_co_u32_e32 v1, vcc, v7, v1, vcc
	s_nop 0
	v_subbrev_co_u32_e64 v5, s[2:3], 0, v5, s[2:3]
	v_cmp_le_u32_e64 s[2:3], s19, v5
	v_cmp_le_u32_e32 vcc, s19, v1
	s_nop 0
	v_cndmask_b32_e64 v11, 0, -1, s[2:3]
	v_cmp_le_u32_e64 s[2:3], s18, v10
	s_nop 1
	v_cndmask_b32_e64 v10, 0, -1, s[2:3]
	v_cmp_eq_u32_e64 s[2:3], s19, v5
	s_nop 1
	v_cndmask_b32_e64 v5, v11, v10, s[2:3]
	v_lshl_add_u64 v[10:11], v[8:9], 0, 2
	v_cmp_ne_u32_e64 s[2:3], 0, v5
	s_nop 1
	v_cndmask_b32_e64 v5, v13, v11, s[2:3]
	v_cndmask_b32_e64 v11, 0, -1, vcc
	v_cmp_le_u32_e32 vcc, s18, v14
	s_nop 1
	v_cndmask_b32_e64 v13, 0, -1, vcc
	v_cmp_eq_u32_e32 vcc, s19, v1
	s_nop 1
	v_cndmask_b32_e32 v1, v11, v13, vcc
	v_cmp_ne_u32_e32 vcc, 0, v1
	v_cndmask_b32_e64 v1, v12, v10, s[2:3]
	s_nop 0
	v_cndmask_b32_e32 v9, v9, v5, vcc
	v_cndmask_b32_e32 v8, v8, v1, vcc
.LBB0_4:                                ;   in Loop: Header=BB0_2 Depth=1
	s_andn2_saveexec_b64 s[2:3], s[20:21]
	s_cbranch_execz .LBB0_6
; %bb.5:                                ;   in Loop: Header=BB0_2 Depth=1
	v_cvt_f32_u32_e32 v1, s18
	s_sub_i32 s20, 0, s18
	v_rcp_iflag_f32_e32 v1, v1
	s_nop 0
	v_mul_f32_e32 v1, 0x4f7ffffe, v1
	v_cvt_u32_f32_e32 v1, v1
	v_mul_lo_u32 v5, s20, v1
	v_mul_hi_u32 v5, v1, v5
	v_add_u32_e32 v1, v1, v5
	v_mul_hi_u32 v1, v6, v1
	v_mul_lo_u32 v5, v1, s18
	v_sub_u32_e32 v5, v6, v5
	v_add_u32_e32 v8, 1, v1
	v_subrev_u32_e32 v9, s18, v5
	v_cmp_le_u32_e32 vcc, s18, v5
	s_nop 1
	v_cndmask_b32_e32 v5, v5, v9, vcc
	v_cndmask_b32_e32 v1, v1, v8, vcc
	v_add_u32_e32 v8, 1, v1
	v_cmp_le_u32_e32 vcc, s18, v5
	v_mov_b32_e32 v9, v4
	s_nop 0
	v_cndmask_b32_e32 v8, v1, v8, vcc
.LBB0_6:                                ;   in Loop: Header=BB0_2 Depth=1
	s_or_b64 exec, exec, s[2:3]
	v_mad_u64_u32 v[10:11], s[2:3], v8, s18, 0
	s_load_dwordx2 s[2:3], s[12:13], 0x0
	v_mul_lo_u32 v1, v9, s18
	v_mul_lo_u32 v5, v8, s19
	v_add3_u32 v1, v11, v5, v1
	v_sub_co_u32_e32 v5, vcc, v6, v10
	s_add_u32 s14, s14, 1
	s_nop 0
	v_subb_co_u32_e32 v1, vcc, v7, v1, vcc
	s_addc_u32 s15, s15, 0
	s_waitcnt lgkmcnt(0)
	v_mul_lo_u32 v1, s2, v1
	v_mul_lo_u32 v6, s3, v5
	v_mad_u64_u32 v[2:3], s[2:3], s2, v5, v[2:3]
	s_add_u32 s12, s12, 8
	v_add3_u32 v3, v6, v3, v1
	s_addc_u32 s13, s13, 0
	v_mov_b64_e32 v[6:7], s[6:7]
	s_add_u32 s16, s16, 8
	v_cmp_ge_u64_e32 vcc, s[14:15], v[6:7]
	s_addc_u32 s17, s17, 0
	s_cbranch_vccnz .LBB0_9
; %bb.7:                                ;   in Loop: Header=BB0_2 Depth=1
	v_mov_b64_e32 v[6:7], v[8:9]
	s_branch .LBB0_2
.LBB0_8:
	v_mov_b64_e32 v[8:9], v[6:7]
.LBB0_9:
	s_lshl_b64 s[2:3], s[6:7], 3
	s_add_u32 s2, s10, s2
	s_addc_u32 s3, s11, s3
	s_load_dwordx2 s[6:7], s[2:3], 0x0
	s_load_dwordx2 s[10:11], s[0:1], 0x20
                                        ; implicit-def: $vgpr6_vgpr7
                                        ; implicit-def: $vgpr10_vgpr11
                                        ; implicit-def: $vgpr18_vgpr19
                                        ; implicit-def: $vgpr26_vgpr27
                                        ; implicit-def: $vgpr34_vgpr35
                                        ; implicit-def: $vgpr42_vgpr43
                                        ; implicit-def: $vgpr50_vgpr51
                                        ; implicit-def: $vgpr54_vgpr55
                                        ; implicit-def: $vgpr58_vgpr59
                                        ; implicit-def: $vgpr62_vgpr63
                                        ; implicit-def: $vgpr66_vgpr67
                                        ; implicit-def: $vgpr46_vgpr47
                                        ; implicit-def: $vgpr38_vgpr39
                                        ; implicit-def: $vgpr30_vgpr31
                                        ; implicit-def: $vgpr22_vgpr23
                                        ; implicit-def: $vgpr14_vgpr15
	s_waitcnt lgkmcnt(0)
	v_mad_u64_u32 v[2:3], s[0:1], s6, v8, v[2:3]
	v_mul_lo_u32 v1, s6, v9
	v_mul_lo_u32 v4, s7, v8
	s_mov_b32 s0, 0x226b903
	v_add3_u32 v3, v4, v3, v1
	v_mul_hi_u32 v1, v0, s0
	v_mul_u32_u24_e32 v1, 0x77, v1
	v_sub_u32_e32 v98, v0, v1
	s_movk_i32 s0, 0x70
	v_cmp_gt_u64_e32 vcc, s[10:11], v[8:9]
	v_cmp_gt_u32_e64 s[0:1], s0, v98
	s_and_b64 s[2:3], vcc, s[0:1]
	v_lshl_add_u64 v[96:97], v[2:3], 4, s[8:9]
                                        ; implicit-def: $vgpr2_vgpr3
	s_and_saveexec_b64 s[6:7], s[2:3]
	s_cbranch_execz .LBB0_11
; %bb.10:
	v_mov_b32_e32 v99, 0
	v_lshl_add_u64 v[48:49], v[98:99], 4, v[96:97]
	s_movk_i32 s2, 0x1000
	v_add_co_u32_e64 v24, s[2:3], s2, v48
	global_load_dwordx4 v[0:3], v[48:49], off
	global_load_dwordx4 v[4:7], v[48:49], off offset:1792
	v_addc_co_u32_e64 v25, s[2:3], 0, v49, s[2:3]
	s_movk_i32 s2, 0x2000
	s_nop 0
	v_add_co_u32_e64 v32, s[2:3], s2, v48
	global_load_dwordx4 v[8:11], v[48:49], off offset:3584
	global_load_dwordx4 v[12:15], v[24:25], off offset:1280
	v_addc_co_u32_e64 v33, s[2:3], 0, v49, s[2:3]
	s_movk_i32 s2, 0x3000
	s_nop 0
	v_add_co_u32_e64 v40, s[2:3], s2, v48
	global_load_dwordx4 v[20:23], v[24:25], off offset:3072
	;; [unrolled: 6-line block ×3, first 2 shown]
	global_load_dwordx4 v[28:31], v[40:41], off offset:256
	v_addc_co_u32_e64 v51, s[2:3], 0, v49, s[2:3]
	s_movk_i32 s2, 0x5000
	s_nop 0
	v_add_co_u32_e64 v68, s[2:3], s2, v48
	v_or_b32_e32 v32, 0x380, v98
	s_nop 0
	v_addc_co_u32_e64 v69, s[2:3], 0, v49, s[2:3]
	s_movk_i32 s2, 0x6000
	v_mov_b32_e32 v33, v99
	v_add_co_u32_e64 v70, s[2:3], s2, v48
	v_lshl_add_u64 v[42:43], v[32:33], 4, v[96:97]
	s_nop 0
	v_addc_co_u32_e64 v71, s[2:3], 0, v49, s[2:3]
	v_or_b32_e32 v48, 0x700, v98
	v_mov_b32_e32 v49, v99
	global_load_dwordx4 v[36:39], v[42:43], off
	global_load_dwordx4 v[32:35], v[40:41], off offset:3840
	s_nop 0
	global_load_dwordx4 v[40:43], v[50:51], off offset:1536
	global_load_dwordx4 v[44:47], v[50:51], off offset:3328
	v_lshl_add_u64 v[72:73], v[48:49], 4, v[96:97]
	global_load_dwordx4 v[64:67], v[68:69], off offset:1024
	global_load_dwordx4 v[48:51], v[68:69], off offset:2816
	;; [unrolled: 1-line block ×4, first 2 shown]
	global_load_dwordx4 v[56:59], v[72:73], off
.LBB0_11:
	s_or_b64 exec, exec, s[6:7]
	s_mov_b32 s2, 0x370991
	s_waitcnt vmcnt(0)
	v_add_f64 v[76:77], v[4:5], v[56:57]
	s_mov_b32 s3, 0x3fedd6d0
	s_mov_b32 s16, 0x5d8e7cdc
	v_add_f64 v[68:69], v[6:7], -v[58:59]
	v_mul_f64 v[70:71], v[76:77], s[2:3]
	s_mov_b32 s17, 0xbfd71e95
	s_mov_b32 s6, 0x75d4884
	v_fma_f64 v[72:73], s[16:17], v[68:69], v[70:71]
	s_mov_b32 s7, 0x3fe7a5f6
	s_mov_b32 s18, 0x2a9d6da3
	v_add_f64 v[82:83], v[8:9], v[60:61]
	v_add_f64 v[78:79], v[72:73], v[0:1]
	s_mov_b32 s19, 0xbfe58eea
	v_add_f64 v[72:73], v[10:11], -v[62:63]
	v_mul_f64 v[74:75], v[82:83], s[6:7]
	s_mov_b32 s8, 0x2b2883cd
	v_fma_f64 v[80:81], s[18:19], v[72:73], v[74:75]
	s_mov_b32 s9, 0x3fdc86fa
	s_mov_b32 s22, 0x7c9e640b
	v_add_f64 v[88:89], v[52:53], v[12:13]
	v_add_f64 v[84:85], v[80:81], v[78:79]
	s_mov_b32 s23, 0xbfeca52d
	v_add_f64 v[78:79], v[14:15], -v[54:55]
	v_mul_f64 v[80:81], v[88:89], s[8:9]
	;; [unrolled: 9-line block ×7, first 2 shown]
	v_fma_f64 v[120:121], s[36:37], v[118:119], v[116:117]
	v_add_f64 v[100:101], v[120:121], v[100:101]
	s_and_saveexec_b64 s[38:39], s[0:1]
	s_cbranch_execz .LBB0_13
; %bb.12:
	s_mov_b32 s41, 0x3fd71e95
	s_mov_b32 s40, s16
	v_mul_f64 v[124:125], v[68:69], s[36:37]
	v_fma_f64 v[120:121], s[24:25], v[76:77], v[124:125]
	v_mul_f64 v[126:127], v[72:73], s[40:41]
	v_add_f64 v[120:121], v[120:121], v[0:1]
	v_fma_f64 v[128:129], s[2:3], v[82:83], v[126:127]
	v_add_f64 v[120:121], v[128:129], v[120:121]
	v_mul_f64 v[128:129], v[78:79], s[34:35]
	v_fma_f64 v[130:131], s[20:21], v[88:89], v[128:129]
	s_mov_b32 s45, 0x3fe58eea
	s_mov_b32 s44, s18
	v_add_f64 v[120:121], v[130:131], v[120:121]
	v_mul_f64 v[130:131], v[84:85], s[44:45]
	v_fma_f64 v[132:133], s[6:7], v[94:95], v[130:131]
	v_add_f64 v[120:121], v[132:133], v[120:121]
	v_mul_f64 v[132:133], v[90:91], s[30:31]
	v_fma_f64 v[124:125], v[76:77], s[24:25], -v[124:125]
	v_fma_f64 v[134:135], s[14:15], v[102:103], v[132:133]
	s_mov_b32 s43, 0x3feca52d
	s_mov_b32 s42, s22
	v_fma_f64 v[126:127], v[82:83], s[2:3], -v[126:127]
	v_add_f64 v[124:125], v[124:125], v[0:1]
	v_add_f64 v[120:121], v[134:135], v[120:121]
	v_mul_f64 v[134:135], v[104:105], s[42:43]
	v_add_f64 v[124:125], v[126:127], v[124:125]
	v_fma_f64 v[126:127], v[88:89], s[20:21], -v[128:129]
	v_fma_f64 v[136:137], s[8:9], v[108:109], v[134:135]
	v_add_f64 v[124:125], v[126:127], v[124:125]
	v_fma_f64 v[126:127], v[94:95], s[6:7], -v[130:131]
	v_add_f64 v[120:121], v[136:137], v[120:121]
	v_mul_f64 v[136:137], v[110:111], s[28:29]
	v_add_f64 v[124:125], v[126:127], v[124:125]
	v_fma_f64 v[126:127], v[102:103], s[14:15], -v[132:133]
	v_fma_f64 v[138:139], s[12:13], v[114:115], v[136:137]
	s_mov_b32 s53, 0x3fefdd0d
	s_mov_b32 s52, s26
	v_add_f64 v[124:125], v[126:127], v[124:125]
	v_fma_f64 v[126:127], v[108:109], s[8:9], -v[134:135]
	v_add_f64 v[120:121], v[138:139], v[120:121]
	v_mul_f64 v[138:139], v[118:119], s[52:53]
	v_add_f64 v[124:125], v[126:127], v[124:125]
	v_fma_f64 v[126:127], v[114:115], s[12:13], -v[136:137]
	v_add_f64 v[124:125], v[126:127], v[124:125]
	v_fma_f64 v[126:127], v[122:123], s[10:11], -v[138:139]
	v_mul_f64 v[128:129], v[68:69], s[34:35]
	v_add_f64 v[124:125], v[126:127], v[124:125]
	v_fma_f64 v[126:127], s[20:21], v[76:77], v[128:129]
	v_mul_f64 v[130:131], v[72:73], s[42:43]
	v_add_f64 v[126:127], v[126:127], v[0:1]
	v_fma_f64 v[132:133], s[8:9], v[82:83], v[130:131]
	v_add_f64 v[126:127], v[132:133], v[126:127]
	v_mul_f64 v[132:133], v[78:79], s[26:27]
	v_fma_f64 v[134:135], s[10:11], v[88:89], v[132:133]
	s_mov_b32 s51, 0x3fe9895b
	s_mov_b32 s50, s30
	v_add_f64 v[126:127], v[134:135], v[126:127]
	v_mul_f64 v[134:135], v[84:85], s[50:51]
	v_fma_f64 v[136:137], s[14:15], v[94:95], v[134:135]
	v_add_f64 v[126:127], v[136:137], v[126:127]
	v_mul_f64 v[136:137], v[90:91], s[16:17]
	v_fma_f64 v[128:129], v[76:77], s[20:21], -v[128:129]
	v_fma_f64 v[140:141], s[10:11], v[122:123], v[138:139]
	v_fma_f64 v[138:139], s[2:3], v[102:103], v[136:137]
	v_fma_f64 v[130:131], v[82:83], s[8:9], -v[130:131]
	v_add_f64 v[128:129], v[128:129], v[0:1]
	v_add_f64 v[126:127], v[138:139], v[126:127]
	v_mul_f64 v[138:139], v[104:105], s[36:37]
	v_add_f64 v[128:129], v[130:131], v[128:129]
	v_fma_f64 v[130:131], v[88:89], s[10:11], -v[132:133]
	v_add_f64 v[120:121], v[140:141], v[120:121]
	v_fma_f64 v[140:141], s[24:25], v[108:109], v[138:139]
	v_add_f64 v[128:129], v[130:131], v[128:129]
	v_fma_f64 v[130:131], v[94:95], s[14:15], -v[134:135]
	v_add_f64 v[126:127], v[140:141], v[126:127]
	v_mul_f64 v[140:141], v[110:111], s[44:45]
	v_add_f64 v[128:129], v[130:131], v[128:129]
	v_fma_f64 v[130:131], v[102:103], s[2:3], -v[136:137]
	v_fma_f64 v[142:143], s[6:7], v[114:115], v[140:141]
	v_add_f64 v[128:129], v[130:131], v[128:129]
	v_fma_f64 v[130:131], v[108:109], s[24:25], -v[138:139]
	v_add_f64 v[126:127], v[142:143], v[126:127]
	v_mul_f64 v[142:143], v[118:119], s[28:29]
	v_add_f64 v[128:129], v[130:131], v[128:129]
	v_fma_f64 v[130:131], v[114:115], s[6:7], -v[140:141]
	v_add_f64 v[128:129], v[130:131], v[128:129]
	v_fma_f64 v[130:131], v[122:123], s[12:13], -v[142:143]
	s_mov_b32 s47, 0x3feec746
	s_mov_b32 s46, s28
	v_mul_f64 v[132:133], v[68:69], s[30:31]
	v_add_f64 v[128:129], v[130:131], v[128:129]
	v_fma_f64 v[130:131], s[14:15], v[76:77], v[132:133]
	v_mul_f64 v[134:135], v[72:73], s[46:47]
	v_add_f64 v[130:131], v[130:131], v[0:1]
	v_fma_f64 v[136:137], s[12:13], v[82:83], v[134:135]
	v_add_f64 v[130:131], v[136:137], v[130:131]
	v_mul_f64 v[136:137], v[78:79], s[16:17]
	v_fma_f64 v[138:139], s[2:3], v[88:89], v[136:137]
	v_add_f64 v[130:131], v[138:139], v[130:131]
	v_mul_f64 v[138:139], v[84:85], s[34:35]
	;; [unrolled: 3-line block ×3, first 2 shown]
	v_fma_f64 v[132:133], v[76:77], s[14:15], -v[132:133]
	v_fma_f64 v[144:145], s[12:13], v[122:123], v[142:143]
	v_fma_f64 v[142:143], s[10:11], v[102:103], v[140:141]
	v_fma_f64 v[134:135], v[82:83], s[12:13], -v[134:135]
	v_add_f64 v[132:133], v[132:133], v[0:1]
	v_add_f64 v[130:131], v[142:143], v[130:131]
	v_mul_f64 v[142:143], v[104:105], s[18:19]
	v_add_f64 v[132:133], v[134:135], v[132:133]
	v_fma_f64 v[134:135], v[88:89], s[2:3], -v[136:137]
	v_add_f64 v[126:127], v[144:145], v[126:127]
	v_fma_f64 v[144:145], s[6:7], v[108:109], v[142:143]
	v_add_f64 v[132:133], v[134:135], v[132:133]
	v_fma_f64 v[134:135], v[94:95], s[20:21], -v[138:139]
	v_add_f64 v[130:131], v[144:145], v[130:131]
	v_mul_f64 v[144:145], v[110:111], s[36:37]
	v_add_f64 v[132:133], v[134:135], v[132:133]
	v_fma_f64 v[134:135], v[102:103], s[10:11], -v[140:141]
	v_fma_f64 v[146:147], s[24:25], v[114:115], v[144:145]
	v_add_f64 v[132:133], v[134:135], v[132:133]
	v_fma_f64 v[134:135], v[108:109], s[6:7], -v[142:143]
	v_add_f64 v[130:131], v[146:147], v[130:131]
	v_mul_f64 v[146:147], v[118:119], s[42:43]
	v_add_f64 v[132:133], v[134:135], v[132:133]
	v_fma_f64 v[134:135], v[114:115], s[24:25], -v[144:145]
	v_add_f64 v[132:133], v[134:135], v[132:133]
	v_fma_f64 v[134:135], v[122:123], s[8:9], -v[146:147]
	s_mov_b32 s49, 0x3fe0d888
	s_mov_b32 s48, s34
	v_mul_f64 v[136:137], v[68:69], s[28:29]
	v_add_f64 v[132:133], v[134:135], v[132:133]
	v_fma_f64 v[134:135], s[12:13], v[76:77], v[136:137]
	v_mul_f64 v[138:139], v[72:73], s[48:49]
	v_add_f64 v[134:135], v[134:135], v[0:1]
	v_fma_f64 v[140:141], s[20:21], v[82:83], v[138:139]
	v_add_f64 v[134:135], v[140:141], v[134:135]
	v_mul_f64 v[140:141], v[78:79], s[44:45]
	v_fma_f64 v[142:143], s[6:7], v[88:89], v[140:141]
	v_add_f64 v[134:135], v[142:143], v[134:135]
	v_mul_f64 v[142:143], v[84:85], s[22:23]
	;; [unrolled: 3-line block ×3, first 2 shown]
	v_fma_f64 v[136:137], v[76:77], s[12:13], -v[136:137]
	v_fma_f64 v[148:149], s[8:9], v[122:123], v[146:147]
	v_fma_f64 v[146:147], s[24:25], v[102:103], v[144:145]
	v_fma_f64 v[138:139], v[82:83], s[20:21], -v[138:139]
	v_add_f64 v[136:137], v[136:137], v[0:1]
	v_add_f64 v[134:135], v[146:147], v[134:135]
	v_mul_f64 v[146:147], v[104:105], s[52:53]
	v_add_f64 v[136:137], v[138:139], v[136:137]
	v_fma_f64 v[138:139], v[88:89], s[6:7], -v[140:141]
	v_add_f64 v[130:131], v[148:149], v[130:131]
	v_fma_f64 v[148:149], s[10:11], v[108:109], v[146:147]
	v_add_f64 v[136:137], v[138:139], v[136:137]
	v_fma_f64 v[138:139], v[94:95], s[8:9], -v[142:143]
	v_add_f64 v[134:135], v[148:149], v[134:135]
	v_mul_f64 v[148:149], v[110:111], s[16:17]
	v_add_f64 v[136:137], v[138:139], v[136:137]
	v_fma_f64 v[138:139], v[102:103], s[24:25], -v[144:145]
	v_fma_f64 v[150:151], s[2:3], v[114:115], v[148:149]
	v_add_f64 v[136:137], v[138:139], v[136:137]
	v_fma_f64 v[138:139], v[108:109], s[10:11], -v[146:147]
	v_add_f64 v[134:135], v[150:151], v[134:135]
	v_mul_f64 v[150:151], v[118:119], s[30:31]
	v_add_f64 v[136:137], v[138:139], v[136:137]
	v_fma_f64 v[138:139], v[114:115], s[2:3], -v[148:149]
	v_add_f64 v[136:137], v[138:139], v[136:137]
	v_fma_f64 v[138:139], v[122:123], s[14:15], -v[150:151]
	v_add_f64 v[136:137], v[138:139], v[136:137]
	v_mul_f64 v[138:139], v[68:69], s[26:27]
	v_fma_f64 v[140:141], s[10:11], v[76:77], v[138:139]
	v_mul_f64 v[142:143], v[72:73], s[36:37]
	v_add_f64 v[140:141], v[140:141], v[0:1]
	v_fma_f64 v[144:145], s[24:25], v[82:83], v[142:143]
	v_add_f64 v[140:141], v[144:145], v[140:141]
	v_mul_f64 v[144:145], v[78:79], s[46:47]
	v_fma_f64 v[146:147], s[12:13], v[88:89], v[144:145]
	v_add_f64 v[140:141], v[146:147], v[140:141]
	v_mul_f64 v[146:147], v[84:85], s[40:41]
	;; [unrolled: 3-line block ×3, first 2 shown]
	v_fma_f64 v[138:139], v[76:77], s[10:11], -v[138:139]
	v_fma_f64 v[152:153], s[14:15], v[122:123], v[150:151]
	v_fma_f64 v[150:151], s[8:9], v[102:103], v[148:149]
	v_fma_f64 v[142:143], v[82:83], s[24:25], -v[142:143]
	v_add_f64 v[138:139], v[138:139], v[0:1]
	v_add_f64 v[140:141], v[150:151], v[140:141]
	v_mul_f64 v[150:151], v[104:105], s[34:35]
	v_add_f64 v[138:139], v[142:143], v[138:139]
	v_fma_f64 v[142:143], v[88:89], s[12:13], -v[144:145]
	v_add_f64 v[134:135], v[152:153], v[134:135]
	v_fma_f64 v[152:153], s[20:21], v[108:109], v[150:151]
	v_add_f64 v[138:139], v[142:143], v[138:139]
	v_fma_f64 v[142:143], v[94:95], s[2:3], -v[146:147]
	v_add_f64 v[140:141], v[152:153], v[140:141]
	v_mul_f64 v[152:153], v[110:111], s[50:51]
	v_add_f64 v[138:139], v[142:143], v[138:139]
	v_fma_f64 v[142:143], v[102:103], s[8:9], -v[148:149]
	v_fma_f64 v[154:155], s[14:15], v[114:115], v[152:153]
	v_add_f64 v[138:139], v[142:143], v[138:139]
	v_fma_f64 v[142:143], v[108:109], s[20:21], -v[150:151]
	v_add_f64 v[140:141], v[154:155], v[140:141]
	v_mul_f64 v[154:155], v[118:119], s[44:45]
	v_add_f64 v[138:139], v[142:143], v[138:139]
	v_fma_f64 v[142:143], v[114:115], s[14:15], -v[152:153]
	v_add_f64 v[138:139], v[142:143], v[138:139]
	v_fma_f64 v[142:143], v[122:123], s[6:7], -v[154:155]
	v_add_f64 v[138:139], v[142:143], v[138:139]
	v_mul_f64 v[142:143], v[68:69], s[22:23]
	v_fma_f64 v[144:145], s[8:9], v[76:77], v[142:143]
	v_mul_f64 v[146:147], v[72:73], s[30:31]
	v_add_f64 v[144:145], v[144:145], v[0:1]
	v_fma_f64 v[148:149], s[14:15], v[82:83], v[146:147]
	s_mov_b32 s51, 0x3fc7851a
	s_mov_b32 s50, s36
	v_add_f64 v[144:145], v[148:149], v[144:145]
	v_mul_f64 v[148:149], v[78:79], s[50:51]
	v_fma_f64 v[150:151], s[24:25], v[88:89], v[148:149]
	v_add_f64 v[144:145], v[150:151], v[144:145]
	v_mul_f64 v[150:151], v[84:85], s[46:47]
	v_fma_f64 v[152:153], s[12:13], v[94:95], v[150:151]
	v_add_f64 v[144:145], v[152:153], v[144:145]
	v_mul_f64 v[152:153], v[90:91], s[44:45]
	v_fma_f64 v[142:143], v[76:77], s[8:9], -v[142:143]
	v_fma_f64 v[156:157], s[6:7], v[122:123], v[154:155]
	v_fma_f64 v[154:155], s[6:7], v[102:103], v[152:153]
	v_fma_f64 v[146:147], v[82:83], s[14:15], -v[146:147]
	v_add_f64 v[142:143], v[142:143], v[0:1]
	v_add_f64 v[144:145], v[154:155], v[144:145]
	v_mul_f64 v[154:155], v[104:105], s[16:17]
	v_add_f64 v[142:143], v[146:147], v[142:143]
	v_fma_f64 v[146:147], v[88:89], s[24:25], -v[148:149]
	v_add_f64 v[140:141], v[156:157], v[140:141]
	v_fma_f64 v[156:157], s[2:3], v[108:109], v[154:155]
	v_add_f64 v[142:143], v[146:147], v[142:143]
	v_fma_f64 v[146:147], v[94:95], s[12:13], -v[150:151]
	v_add_f64 v[144:145], v[156:157], v[144:145]
	v_mul_f64 v[156:157], v[110:111], s[26:27]
	v_add_f64 v[142:143], v[146:147], v[142:143]
	v_fma_f64 v[146:147], v[102:103], s[6:7], -v[152:153]
	v_fma_f64 v[158:159], s[10:11], v[114:115], v[156:157]
	v_add_f64 v[142:143], v[146:147], v[142:143]
	v_fma_f64 v[146:147], v[108:109], s[2:3], -v[154:155]
	v_add_f64 v[144:145], v[158:159], v[144:145]
	v_mul_f64 v[158:159], v[118:119], s[34:35]
	v_add_f64 v[142:143], v[146:147], v[142:143]
	v_fma_f64 v[146:147], v[114:115], s[10:11], -v[156:157]
	v_add_f64 v[142:143], v[146:147], v[142:143]
	v_fma_f64 v[146:147], v[122:123], s[20:21], -v[158:159]
	v_add_f64 v[142:143], v[146:147], v[142:143]
	v_mul_f64 v[146:147], v[68:69], s[18:19]
	v_mul_f64 v[68:69], v[68:69], s[16:17]
	v_fma_f64 v[148:149], s[6:7], v[76:77], v[146:147]
	v_fma_f64 v[76:77], v[76:77], s[6:7], -v[146:147]
	v_add_f64 v[68:69], v[70:71], -v[68:69]
	v_add_f64 v[148:149], v[148:149], v[0:1]
	v_add_f64 v[76:77], v[76:77], v[0:1]
	;; [unrolled: 1-line block ×5, first 2 shown]
	v_mul_f64 v[150:151], v[72:73], s[26:27]
	v_add_f64 v[0:1], v[12:13], v[0:1]
	v_fma_f64 v[152:153], s[10:11], v[82:83], v[150:151]
	v_add_f64 v[0:1], v[20:21], v[0:1]
	v_add_f64 v[148:149], v[152:153], v[148:149]
	v_mul_f64 v[152:153], v[78:79], s[30:31]
	v_add_f64 v[0:1], v[16:17], v[0:1]
	v_fma_f64 v[154:155], s[14:15], v[88:89], v[152:153]
	v_add_f64 v[0:1], v[24:25], v[0:1]
	v_add_f64 v[148:149], v[154:155], v[148:149]
	v_mul_f64 v[154:155], v[84:85], s[36:37]
	v_add_f64 v[0:1], v[28:29], v[0:1]
	v_fma_f64 v[156:157], s[24:25], v[94:95], v[154:155]
	v_mul_f64 v[72:73], v[72:73], s[18:19]
	v_add_f64 v[0:1], v[36:37], v[0:1]
	v_add_f64 v[148:149], v[156:157], v[148:149]
	v_mul_f64 v[156:157], v[90:91], s[48:49]
	v_fma_f64 v[82:83], v[82:83], s[10:11], -v[150:151]
	v_mul_f64 v[78:79], v[78:79], s[22:23]
	v_add_f64 v[72:73], v[74:75], -v[72:73]
	v_add_f64 v[0:1], v[32:33], v[0:1]
	v_fma_f64 v[160:161], s[20:21], v[122:123], v[158:159]
	v_fma_f64 v[158:159], s[20:21], v[102:103], v[156:157]
	v_fma_f64 v[88:89], v[88:89], s[14:15], -v[152:153]
	v_add_f64 v[76:77], v[82:83], v[76:77]
	v_mul_f64 v[84:85], v[84:85], s[26:27]
	v_add_f64 v[78:79], v[80:81], -v[78:79]
	v_add_f64 v[68:69], v[72:73], v[68:69]
	v_add_f64 v[0:1], v[40:41], v[0:1]
	;; [unrolled: 1-line block ×3, first 2 shown]
	v_mul_f64 v[158:159], v[104:105], s[46:47]
	v_fma_f64 v[94:95], v[94:95], s[24:25], -v[154:155]
	v_add_f64 v[76:77], v[88:89], v[76:77]
	v_mul_f64 v[90:91], v[90:91], s[28:29]
	v_add_f64 v[84:85], v[86:87], -v[84:85]
	v_add_f64 v[68:69], v[78:79], v[68:69]
	v_add_f64 v[0:1], v[44:45], v[0:1]
	;; [unrolled: 1-line block ×3, first 2 shown]
	v_fma_f64 v[160:161], s[12:13], v[108:109], v[158:159]
	v_add_f64 v[76:77], v[94:95], v[76:77]
	v_mul_f64 v[94:95], v[104:105], s[30:31]
	v_add_f64 v[90:91], v[92:93], -v[90:91]
	v_add_f64 v[68:69], v[84:85], v[68:69]
	v_add_f64 v[0:1], v[64:65], v[0:1]
	;; [unrolled: 1-line block ×3, first 2 shown]
	v_mul_f64 v[160:161], v[110:111], s[42:43]
	v_fma_f64 v[102:103], v[102:103], s[20:21], -v[156:157]
	v_mul_f64 v[88:89], v[110:111], s[34:35]
	v_add_f64 v[94:95], v[106:107], -v[94:95]
	v_add_f64 v[68:69], v[90:91], v[68:69]
	v_add_f64 v[0:1], v[48:49], v[0:1]
	v_fma_f64 v[162:163], s[8:9], v[114:115], v[160:161]
	v_fma_f64 v[108:109], v[108:109], s[12:13], -v[158:159]
	v_add_f64 v[76:77], v[102:103], v[76:77]
	v_mul_f64 v[82:83], v[118:119], s[36:37]
	v_add_f64 v[88:89], v[112:113], -v[88:89]
	v_add_f64 v[68:69], v[94:95], v[68:69]
	v_add_f64 v[0:1], v[52:53], v[0:1]
	;; [unrolled: 1-line block ×3, first 2 shown]
	v_mul_f64 v[162:163], v[118:119], s[40:41]
	v_fma_f64 v[114:115], v[114:115], s[8:9], -v[160:161]
	v_add_f64 v[76:77], v[108:109], v[76:77]
	v_add_f64 v[82:83], v[116:117], -v[82:83]
	v_add_f64 v[68:69], v[88:89], v[68:69]
	v_add_f64 v[0:1], v[60:61], v[0:1]
	s_movk_i32 s33, 0x88
	v_fma_f64 v[164:165], s[2:3], v[122:123], v[162:163]
	v_fma_f64 v[122:123], v[122:123], s[2:3], -v[162:163]
	v_add_f64 v[76:77], v[114:115], v[76:77]
	v_add_f64 v[68:69], v[82:83], v[68:69]
	;; [unrolled: 1-line block ×3, first 2 shown]
	v_mad_u32_u24 v70, v98, s33, 0
	v_add_f64 v[148:149], v[164:165], v[148:149]
	v_add_f64 v[76:77], v[122:123], v[76:77]
	ds_write2_b64 v70, v[0:1], v[68:69] offset1:1
	ds_write2_b64 v70, v[76:77], v[142:143] offset0:2 offset1:3
	ds_write2_b64 v70, v[138:139], v[136:137] offset0:4 offset1:5
	;; [unrolled: 1-line block ×7, first 2 shown]
	ds_write_b64 v70, v[100:101] offset:128
.LBB0_13:
	s_or_b64 exec, exec, s[38:39]
	v_add_f64 v[126:127], v[4:5], -v[56:57]
	v_add_f64 v[122:123], v[6:7], v[58:59]
	v_mul_f64 v[128:129], v[126:127], s[16:17]
	v_add_f64 v[120:121], v[8:9], -v[60:61]
	v_fma_f64 v[0:1], v[122:123], s[2:3], -v[128:129]
	v_add_f64 v[116:117], v[10:11], v[62:63]
	v_mul_f64 v[124:125], v[120:121], s[18:19]
	v_add_f64 v[110:111], v[12:13], -v[52:53]
	v_add_f64 v[0:1], v[0:1], v[2:3]
	v_fma_f64 v[4:5], v[116:117], s[6:7], -v[124:125]
	v_add_f64 v[108:109], v[54:55], v[14:15]
	v_mul_f64 v[118:119], v[110:111], s[22:23]
	v_add_f64 v[94:95], v[20:21], -v[48:49]
	v_add_f64 v[0:1], v[4:5], v[0:1]
	;; [unrolled: 5-line block ×6, first 2 shown]
	v_fma_f64 v[4:5], v[44:45], s[20:21], -v[56:57]
	v_add_f64 v[24:25], v[34:35], v[38:39]
	v_mul_f64 v[32:33], v[28:29], s[36:37]
	v_lshl_add_u32 v99, v98, 3, 0
	v_add_u32_e32 v133, 0xee, v98
	v_add_f64 v[0:1], v[4:5], v[0:1]
	v_fma_f64 v[4:5], v[24:25], s[24:25], -v[32:33]
	v_add_u32_e32 v136, 0x1c00, v99
	v_add_u32_e32 v134, 0x165, v98
	v_lshl_add_u32 v130, v133, 3, 0
	v_add_u32_e32 v137, 0x2400, v99
	v_add_u32_e32 v144, 0x253, v98
	;; [unrolled: 1-line block ×5, first 2 shown]
	v_add_f64 v[102:103], v[4:5], v[0:1]
	s_waitcnt lgkmcnt(0)
	s_barrier
	ds_read2_b64 v[68:71], v99 offset1:119
	ds_read2_b64 v[72:75], v136 offset0:56 offset1:175
	ds_read2_b64 v[76:79], v137 offset0:38 offset1:157
	v_lshl_add_u32 v131, v134, 3, 0
	v_lshl_add_u32 v132, v145, 3, 0
	ds_read2_b64 v[84:87], v139 offset0:20 offset1:139
	v_lshl_add_u32 v138, v144, 3, 0
	ds_read_b64 v[20:21], v130
	ds_read_b64 v[16:17], v131
	;; [unrolled: 1-line block ×4, first 2 shown]
	v_add_u32_e32 v142, 0x341, v98
	v_lshl_add_u32 v140, v143, 3, 0
	v_add_u32_e32 v135, 0x3000, v99
	v_lshl_add_u32 v141, v142, 3, 0
	ds_read_b64 v[12:13], v140
	ds_read_b64 v[4:5], v141
	ds_read2_b64 v[80:83], v135 offset0:130 offset1:249
	s_waitcnt lgkmcnt(0)
	s_barrier
	s_and_saveexec_b64 s[16:17], s[0:1]
	s_cbranch_execz .LBB0_15
; %bb.14:
	v_add_f64 v[6:7], v[6:7], v[2:3]
	v_add_f64 v[6:7], v[10:11], v[6:7]
	v_add_f64 v[6:7], v[14:15], v[6:7]
	v_add_f64 v[6:7], v[22:23], v[6:7]
	v_add_f64 v[6:7], v[18:19], v[6:7]
	v_add_f64 v[6:7], v[26:27], v[6:7]
	v_add_f64 v[6:7], v[30:31], v[6:7]
	v_add_f64 v[6:7], v[38:39], v[6:7]
	v_add_f64 v[6:7], v[34:35], v[6:7]
	v_add_f64 v[6:7], v[42:43], v[6:7]
	v_add_f64 v[6:7], v[46:47], v[6:7]
	v_add_f64 v[6:7], v[66:67], v[6:7]
	v_mul_f64 v[150:151], v[108:109], s[8:9]
	v_mul_f64 v[114:115], v[60:61], s[12:13]
	;; [unrolled: 1-line block ×3, first 2 shown]
	v_add_f64 v[6:7], v[50:51], v[6:7]
	s_mov_b32 s34, 0x7c9e640b
	s_mov_b32 s20, 0xeb564b22
	;; [unrolled: 1-line block ×6, first 2 shown]
	v_mul_f64 v[146:147], v[122:123], s[2:3]
	v_mul_f64 v[152:153], v[92:93], s[10:11]
	v_mul_f64 v[36:37], v[24:25], s[24:25]
	v_add_f64 v[6:7], v[54:55], v[6:7]
	s_mov_b32 s35, 0xbfeca52d
	s_mov_b32 s2, 0x2b2883cd
	;; [unrolled: 1-line block ×11, first 2 shown]
	v_add_f64 v[6:7], v[62:63], v[6:7]
	v_mul_f64 v[14:15], v[126:127], s[18:19]
	v_mul_f64 v[22:23], v[126:127], s[34:35]
	s_mov_b32 s3, 0x3fdc86fa
	v_mul_f64 v[30:31], v[126:127], s[20:21]
	s_mov_b32 s1, 0x3fb79ee6
	;; [unrolled: 2-line block ×3, first 2 shown]
	v_mul_f64 v[46:47], v[126:127], s[12:13]
	v_mul_f64 v[54:55], v[126:127], s[22:23]
	s_mov_b32 s25, 0xbfeb34fa
	v_mul_f64 v[62:63], v[126:127], s[28:29]
	s_mov_b32 s31, 0xbfef7484
	v_mul_f64 v[148:149], v[116:117], s[6:7]
	v_add_f64 v[6:7], v[58:59], v[6:7]
	v_add_f64 v[10:11], v[146:147], v[128:129]
	v_fma_f64 v[18:19], s[6:7], v[122:123], v[14:15]
	v_fma_f64 v[14:15], v[122:123], s[6:7], -v[14:15]
	v_fma_f64 v[26:27], s[2:3], v[122:123], v[22:23]
	v_fma_f64 v[22:23], v[122:123], s[2:3], -v[22:23]
	;; [unrolled: 2-line block ×7, first 2 shown]
	v_add_f64 v[10:11], v[10:11], v[2:3]
	v_add_f64 v[18:19], v[18:19], v[2:3]
	;; [unrolled: 1-line block ×17, first 2 shown]
	v_mul_f64 v[62:63], v[120:121], s[20:21]
	v_fma_f64 v[122:123], s[0:1], v[116:117], v[62:63]
	v_fma_f64 v[62:63], v[116:117], s[0:1], -v[62:63]
	v_add_f64 v[14:15], v[62:63], v[14:15]
	v_mul_f64 v[62:63], v[120:121], s[12:13]
	v_add_f64 v[18:19], v[122:123], v[18:19]
	v_fma_f64 v[122:123], s[14:15], v[116:117], v[62:63]
	v_fma_f64 v[62:63], v[116:117], s[14:15], -v[62:63]
	v_add_f64 v[22:23], v[62:63], v[22:23]
	v_mul_f64 v[62:63], v[120:121], s[28:29]
	v_add_f64 v[26:27], v[122:123], v[26:27]
	v_fma_f64 v[122:123], s[30:31], v[116:117], v[62:63]
	v_fma_f64 v[62:63], v[116:117], s[30:31], -v[62:63]
	s_mov_b32 s47, 0x3fe0d888
	s_mov_b32 s46, s22
	v_add_f64 v[30:31], v[62:63], v[30:31]
	v_mul_f64 v[62:63], v[120:121], s[46:47]
	v_add_f64 v[34:35], v[122:123], v[34:35]
	v_fma_f64 v[122:123], s[24:25], v[116:117], v[62:63]
	v_fma_f64 v[62:63], v[116:117], s[24:25], -v[62:63]
	s_mov_b32 s43, 0x3feec746
	s_mov_b32 s42, s8
	v_add_f64 v[38:39], v[62:63], v[38:39]
	v_mul_f64 v[62:63], v[120:121], s[42:43]
	v_add_f64 v[42:43], v[122:123], v[42:43]
	v_fma_f64 v[122:123], s[10:11], v[116:117], v[62:63]
	v_fma_f64 v[62:63], v[116:117], s[10:11], -v[62:63]
	s_mov_b32 s27, 0x3feca52d
	s_mov_b32 s26, s34
	v_add_f64 v[46:47], v[62:63], v[46:47]
	v_mul_f64 v[62:63], v[120:121], s[26:27]
	s_mov_b32 s36, 0x5d8e7cdc
	v_add_f64 v[50:51], v[122:123], v[50:51]
	v_fma_f64 v[122:123], s[2:3], v[116:117], v[62:63]
	v_fma_f64 v[62:63], v[116:117], s[2:3], -v[62:63]
	s_mov_b32 s37, 0x3fd71e95
	s_mov_b32 s38, 0x370991
	v_add_f64 v[54:55], v[62:63], v[54:55]
	v_mul_f64 v[62:63], v[120:121], s[36:37]
	s_mov_b32 s39, 0x3fedd6d0
	v_fma_f64 v[120:121], s[38:39], v[116:117], v[62:63]
	v_fma_f64 v[62:63], v[116:117], s[38:39], -v[62:63]
	v_add_f64 v[2:3], v[62:63], v[2:3]
	v_add_f64 v[62:63], v[150:151], v[118:119]
	;; [unrolled: 1-line block ×3, first 2 shown]
	v_mul_f64 v[62:63], v[110:111], s[12:13]
	v_fma_f64 v[116:117], s[14:15], v[108:109], v[62:63]
	v_fma_f64 v[62:63], v[108:109], s[14:15], -v[62:63]
	s_mov_b32 s41, 0x3fc7851a
	s_mov_b32 s40, s28
	v_add_f64 v[14:15], v[62:63], v[14:15]
	v_mul_f64 v[62:63], v[110:111], s[40:41]
	v_add_f64 v[18:19], v[116:117], v[18:19]
	v_fma_f64 v[116:117], s[30:31], v[108:109], v[62:63]
	v_fma_f64 v[62:63], v[108:109], s[30:31], -v[62:63]
	v_add_f64 v[22:23], v[62:63], v[22:23]
	v_mul_f64 v[62:63], v[110:111], s[42:43]
	v_add_f64 v[26:27], v[116:117], v[26:27]
	v_fma_f64 v[116:117], s[10:11], v[108:109], v[62:63]
	v_fma_f64 v[62:63], v[108:109], s[10:11], -v[62:63]
	s_mov_b32 s41, 0x3fe58eea
	s_mov_b32 s40, s18
	v_add_f64 v[30:31], v[62:63], v[30:31]
	v_mul_f64 v[62:63], v[110:111], s[40:41]
	v_add_f64 v[34:35], v[116:117], v[34:35]
	v_fma_f64 v[116:117], s[6:7], v[108:109], v[62:63]
	v_fma_f64 v[62:63], v[108:109], s[6:7], -v[62:63]
	s_mov_b32 s45, 0xbfd71e95
	s_mov_b32 s44, s36
	v_add_f64 v[38:39], v[62:63], v[38:39]
	v_mul_f64 v[62:63], v[110:111], s[44:45]
	v_add_f64 v[42:43], v[116:117], v[42:43]
	v_fma_f64 v[116:117], s[38:39], v[108:109], v[62:63]
	v_fma_f64 v[62:63], v[108:109], s[38:39], -v[62:63]
	v_add_f64 v[46:47], v[62:63], v[46:47]
	v_mul_f64 v[62:63], v[110:111], s[20:21]
	v_add_f64 v[50:51], v[116:117], v[50:51]
	v_fma_f64 v[116:117], s[0:1], v[108:109], v[62:63]
	v_fma_f64 v[62:63], v[108:109], s[0:1], -v[62:63]
	v_add_f64 v[54:55], v[62:63], v[54:55]
	v_mul_f64 v[62:63], v[110:111], s[22:23]
	v_fma_f64 v[110:111], s[24:25], v[108:109], v[62:63]
	v_fma_f64 v[62:63], v[108:109], s[24:25], -v[62:63]
	v_add_f64 v[2:3], v[62:63], v[2:3]
	v_add_f64 v[62:63], v[152:153], v[112:113]
	;; [unrolled: 1-line block ×3, first 2 shown]
	v_mul_f64 v[62:63], v[94:95], s[28:29]
	v_fma_f64 v[108:109], s[30:31], v[92:93], v[62:63]
	v_fma_f64 v[62:63], v[92:93], s[30:31], -v[62:63]
	v_add_f64 v[14:15], v[62:63], v[14:15]
	v_mul_f64 v[62:63], v[94:95], s[42:43]
	v_add_f64 v[18:19], v[108:109], v[18:19]
	v_fma_f64 v[108:109], s[10:11], v[92:93], v[62:63]
	v_fma_f64 v[62:63], v[92:93], s[10:11], -v[62:63]
	v_add_f64 v[22:23], v[62:63], v[22:23]
	v_mul_f64 v[62:63], v[94:95], s[36:37]
	v_add_f64 v[26:27], v[108:109], v[26:27]
	;; [unrolled: 5-line block ×4, first 2 shown]
	v_fma_f64 v[108:109], s[24:25], v[92:93], v[62:63]
	v_fma_f64 v[62:63], v[92:93], s[24:25], -v[62:63]
	s_mov_b32 s49, 0x3fe9895b
	s_mov_b32 s48, s12
	v_add_f64 v[46:47], v[62:63], v[46:47]
	v_mul_f64 v[62:63], v[94:95], s[48:49]
	v_add_f64 v[50:51], v[108:109], v[50:51]
	v_fma_f64 v[108:109], s[14:15], v[92:93], v[62:63]
	v_fma_f64 v[62:63], v[92:93], s[14:15], -v[62:63]
	v_add_f64 v[54:55], v[62:63], v[54:55]
	v_mul_f64 v[62:63], v[94:95], s[40:41]
	v_fma_f64 v[94:95], s[6:7], v[92:93], v[62:63]
	v_fma_f64 v[62:63], v[92:93], s[6:7], -v[62:63]
	v_add_f64 v[2:3], v[62:63], v[2:3]
	v_add_f64 v[62:63], v[114:115], v[104:105]
	;; [unrolled: 1-line block ×3, first 2 shown]
	v_mul_f64 v[62:63], v[64:65], s[46:47]
	v_fma_f64 v[92:93], s[24:25], v[60:61], v[62:63]
	v_fma_f64 v[62:63], v[60:61], s[24:25], -v[62:63]
	v_add_f64 v[14:15], v[62:63], v[14:15]
	v_mul_f64 v[62:63], v[64:65], s[40:41]
	v_add_f64 v[18:19], v[92:93], v[18:19]
	v_fma_f64 v[92:93], s[6:7], v[60:61], v[62:63]
	v_fma_f64 v[62:63], v[60:61], s[6:7], -v[62:63]
	v_add_f64 v[22:23], v[62:63], v[22:23]
	v_mul_f64 v[62:63], v[64:65], s[34:35]
	v_add_f64 v[26:27], v[92:93], v[26:27]
	;; [unrolled: 5-line block ×3, first 2 shown]
	v_fma_f64 v[92:93], s[30:31], v[60:61], v[62:63]
	v_fma_f64 v[62:63], v[60:61], s[30:31], -v[62:63]
	s_mov_b32 s35, 0x3fefdd0d
	s_mov_b32 s34, s20
	v_add_f64 v[38:39], v[62:63], v[38:39]
	v_mul_f64 v[62:63], v[64:65], s[34:35]
	v_add_f64 v[42:43], v[92:93], v[42:43]
	v_fma_f64 v[92:93], s[0:1], v[60:61], v[62:63]
	v_fma_f64 v[62:63], v[60:61], s[0:1], -v[62:63]
	v_add_f64 v[46:47], v[62:63], v[46:47]
	v_mul_f64 v[62:63], v[64:65], s[44:45]
	v_add_f64 v[50:51], v[92:93], v[50:51]
	v_fma_f64 v[92:93], s[38:39], v[60:61], v[62:63]
	v_fma_f64 v[62:63], v[60:61], s[38:39], -v[62:63]
	v_add_f64 v[54:55], v[62:63], v[54:55]
	v_mul_f64 v[62:63], v[64:65], s[12:13]
	v_mul_f64 v[106:107], v[48:49], s[14:15]
	v_fma_f64 v[64:65], s[14:15], v[60:61], v[62:63]
	v_fma_f64 v[60:61], v[60:61], s[14:15], -v[62:63]
	v_add_f64 v[2:3], v[60:61], v[2:3]
	v_add_f64 v[60:61], v[106:107], v[88:89]
	;; [unrolled: 1-line block ×3, first 2 shown]
	v_mul_f64 v[60:61], v[52:53], s[42:43]
	v_fma_f64 v[62:63], s[10:11], v[48:49], v[60:61]
	v_fma_f64 v[60:61], v[48:49], s[10:11], -v[60:61]
	v_add_f64 v[14:15], v[60:61], v[14:15]
	v_mul_f64 v[60:61], v[52:53], s[44:45]
	v_add_f64 v[18:19], v[62:63], v[18:19]
	v_fma_f64 v[62:63], s[38:39], v[48:49], v[60:61]
	v_fma_f64 v[60:61], v[48:49], s[38:39], -v[60:61]
	v_add_f64 v[22:23], v[60:61], v[22:23]
	v_mul_f64 v[60:61], v[52:53], s[22:23]
	v_add_f64 v[26:27], v[62:63], v[26:27]
	;; [unrolled: 5-line block ×5, first 2 shown]
	v_fma_f64 v[62:63], s[30:31], v[48:49], v[60:61]
	v_fma_f64 v[60:61], v[48:49], s[30:31], -v[60:61]
	v_mul_f64 v[52:53], v[52:53], s[26:27]
	v_add_f64 v[54:55], v[60:61], v[54:55]
	v_fma_f64 v[60:61], s[2:3], v[48:49], v[52:53]
	v_fma_f64 v[48:49], v[48:49], s[2:3], -v[52:53]
	v_add_f64 v[2:3], v[48:49], v[2:3]
	v_add_f64 v[48:49], v[90:91], v[56:57]
	;; [unrolled: 1-line block ×3, first 2 shown]
	v_mul_f64 v[48:49], v[40:41], s[26:27]
	v_fma_f64 v[52:53], s[2:3], v[44:45], v[48:49]
	v_fma_f64 v[48:49], v[44:45], s[2:3], -v[48:49]
	v_add_f64 v[14:15], v[48:49], v[14:15]
	v_mul_f64 v[48:49], v[40:41], s[20:21]
	v_add_f64 v[18:19], v[52:53], v[18:19]
	v_fma_f64 v[52:53], s[0:1], v[44:45], v[48:49]
	v_fma_f64 v[48:49], v[44:45], s[0:1], -v[48:49]
	v_add_f64 v[32:33], v[36:37], v[32:33]
	v_add_f64 v[22:23], v[48:49], v[22:23]
	v_mul_f64 v[48:49], v[40:41], s[48:49]
	v_add_f64 v[10:11], v[32:33], v[10:11]
	v_mul_f64 v[32:33], v[28:29], s[36:37]
	v_add_f64 v[26:27], v[52:53], v[26:27]
	v_fma_f64 v[52:53], s[14:15], v[44:45], v[48:49]
	v_fma_f64 v[48:49], v[44:45], s[14:15], -v[48:49]
	v_fma_f64 v[36:37], s[38:39], v[24:25], v[32:33]
	v_fma_f64 v[32:33], v[24:25], s[38:39], -v[32:33]
	v_add_f64 v[30:31], v[48:49], v[30:31]
	v_mul_f64 v[48:49], v[40:41], s[44:45]
	v_add_f64 v[14:15], v[32:33], v[14:15]
	v_mul_f64 v[32:33], v[28:29], s[22:23]
	v_add_f64 v[34:35], v[52:53], v[34:35]
	v_fma_f64 v[52:53], s[38:39], v[44:45], v[48:49]
	v_fma_f64 v[48:49], v[44:45], s[38:39], -v[48:49]
	v_add_f64 v[18:19], v[36:37], v[18:19]
	v_fma_f64 v[36:37], s[24:25], v[24:25], v[32:33]
	v_fma_f64 v[32:33], v[24:25], s[24:25], -v[32:33]
	v_add_f64 v[38:39], v[48:49], v[38:39]
	v_mul_f64 v[48:49], v[40:41], s[28:29]
	v_add_f64 v[22:23], v[32:33], v[22:23]
	v_mul_f64 v[32:33], v[28:29], s[40:41]
	v_add_f64 v[42:43], v[52:53], v[42:43]
	v_fma_f64 v[52:53], s[30:31], v[44:45], v[48:49]
	v_fma_f64 v[48:49], v[44:45], s[30:31], -v[48:49]
	v_add_f64 v[26:27], v[36:37], v[26:27]
	v_fma_f64 v[36:37], s[6:7], v[24:25], v[32:33]
	v_fma_f64 v[32:33], v[24:25], s[6:7], -v[32:33]
	v_add_f64 v[58:59], v[122:123], v[58:59]
	v_add_f64 v[66:67], v[120:121], v[66:67]
	;; [unrolled: 1-line block ×3, first 2 shown]
	v_mul_f64 v[48:49], v[40:41], s[40:41]
	v_add_f64 v[30:31], v[32:33], v[30:31]
	v_mul_f64 v[32:33], v[28:29], s[12:13]
	v_add_f64 v[58:59], v[116:117], v[58:59]
	v_add_f64 v[66:67], v[110:111], v[66:67]
	;; [unrolled: 1-line block ×3, first 2 shown]
	v_fma_f64 v[52:53], s[6:7], v[44:45], v[48:49]
	v_fma_f64 v[48:49], v[44:45], s[6:7], -v[48:49]
	v_mul_f64 v[40:41], v[40:41], s[8:9]
	v_add_f64 v[34:35], v[36:37], v[34:35]
	v_fma_f64 v[36:37], s[14:15], v[24:25], v[32:33]
	v_fma_f64 v[32:33], v[24:25], s[14:15], -v[32:33]
	v_add_f64 v[58:59], v[108:109], v[58:59]
	v_add_f64 v[66:67], v[94:95], v[66:67]
	;; [unrolled: 1-line block ×3, first 2 shown]
	v_fma_f64 v[54:55], s[10:11], v[44:45], v[40:41]
	v_fma_f64 v[40:41], v[44:45], s[10:11], -v[40:41]
	v_add_f64 v[32:33], v[32:33], v[38:39]
	v_mul_f64 v[38:39], v[28:29], s[26:27]
	v_add_f64 v[58:59], v[92:93], v[58:59]
	v_add_f64 v[64:65], v[64:65], v[66:67]
	;; [unrolled: 1-line block ×4, first 2 shown]
	v_fma_f64 v[40:41], s[2:3], v[24:25], v[38:39]
	v_fma_f64 v[38:39], v[24:25], s[2:3], -v[38:39]
	v_mul_f64 v[42:43], v[28:29], s[8:9]
	v_mul_f64 v[28:29], v[28:29], s[34:35]
	v_add_f64 v[58:59], v[62:63], v[58:59]
	v_add_f64 v[60:61], v[60:61], v[64:65]
	;; [unrolled: 1-line block ×3, first 2 shown]
	v_fma_f64 v[44:45], s[10:11], v[24:25], v[42:43]
	v_fma_f64 v[42:43], v[24:25], s[10:11], -v[42:43]
	v_fma_f64 v[46:47], s[0:1], v[24:25], v[28:29]
	v_fma_f64 v[24:25], v[24:25], s[0:1], -v[28:29]
	v_add_f64 v[52:53], v[52:53], v[58:59]
	v_add_f64 v[54:55], v[54:55], v[60:61]
	;; [unrolled: 1-line block ×3, first 2 shown]
	v_lshl_add_u32 v24, v98, 7, v99
	v_add_f64 v[40:41], v[40:41], v[50:51]
	v_add_f64 v[44:45], v[44:45], v[52:53]
	;; [unrolled: 1-line block ×4, first 2 shown]
	ds_write2_b64 v24, v[6:7], v[10:11] offset1:1
	ds_write2_b64 v24, v[18:19], v[26:27] offset0:2 offset1:3
	ds_write2_b64 v24, v[34:35], v[36:37] offset0:4 offset1:5
	;; [unrolled: 1-line block ×7, first 2 shown]
	ds_write_b64 v24, v[102:103] offset:128
.LBB0_15:
	s_or_b64 exec, exec, s[16:17]
	s_movk_i32 s0, 0xf1
	v_add_u32_e32 v128, 0x77, v98
	v_mul_lo_u16_sdwa v116, v98, s0 dst_sel:DWORD dst_unused:UNUSED_PAD src0_sel:BYTE_0 src1_sel:DWORD
	v_lshrrev_b16_e32 v117, 12, v116
	v_mul_lo_u16_sdwa v120, v128, s0 dst_sel:DWORD dst_unused:UNUSED_PAD src0_sel:BYTE_0 src1_sel:DWORD
	v_mul_lo_u16_e32 v2, 17, v117
	v_lshrrev_b16_e32 v121, 12, v120
	s_mov_b32 s0, 0xf0f1
	v_sub_u16_e32 v118, v98, v2
	v_mov_b32_e32 v119, 4
	v_mul_lo_u16_e32 v3, 17, v121
	v_mul_u32_u24_sdwa v123, v133, s0 dst_sel:DWORD dst_unused:UNUSED_PAD src0_sel:WORD_0 src1_sel:DWORD
	v_lshlrev_b32_sdwa v2, v119, v118 dst_sel:DWORD dst_unused:UNUSED_PAD src0_sel:DWORD src1_sel:BYTE_0
	v_sub_u16_e32 v122, v128, v3
	v_lshrrev_b32_e32 v124, 20, v123
	v_mul_u32_u24_sdwa v126, v134, s0 dst_sel:DWORD dst_unused:UNUSED_PAD src0_sel:WORD_0 src1_sel:DWORD
	s_waitcnt lgkmcnt(0)
	s_barrier
	v_lshlrev_b32_sdwa v3, v119, v122 dst_sel:DWORD dst_unused:UNUSED_PAD src0_sel:DWORD src1_sel:BYTE_0
	global_load_dwordx4 v[22:25], v2, s[4:5]
	global_load_dwordx4 v[26:29], v3, s[4:5]
	v_mul_lo_u16_e32 v2, 17, v124
	v_lshrrev_b32_e32 v127, 20, v126
	v_sub_u16_e32 v125, v133, v2
	v_mul_lo_u16_e32 v3, 17, v127
	v_mul_u32_u24_sdwa v146, v145, s0 dst_sel:DWORD dst_unused:UNUSED_PAD src0_sel:WORD_0 src1_sel:DWORD
	v_lshlrev_b32_e32 v2, 4, v125
	v_sub_u16_e32 v129, v134, v3
	v_lshrrev_b32_e32 v147, 20, v146
	v_mul_u32_u24_sdwa v149, v144, s0 dst_sel:DWORD dst_unused:UNUSED_PAD src0_sel:WORD_0 src1_sel:DWORD
	v_lshlrev_b32_e32 v3, 4, v129
	global_load_dwordx4 v[30:33], v2, s[4:5]
	global_load_dwordx4 v[34:37], v3, s[4:5]
	v_mul_lo_u16_e32 v2, 17, v147
	v_lshrrev_b32_e32 v150, 20, v149
	v_sub_u16_e32 v148, v145, v2
	v_mul_lo_u16_e32 v3, 17, v150
	v_lshlrev_b32_e32 v2, 4, v148
	v_sub_u16_e32 v151, v144, v3
	v_mul_u32_u24_sdwa v152, v143, s0 dst_sel:DWORD dst_unused:UNUSED_PAD src0_sel:WORD_0 src1_sel:DWORD
	global_load_dwordx4 v[38:41], v2, s[4:5]
	v_lshlrev_b32_e32 v2, 4, v151
	v_lshrrev_b32_e32 v153, 20, v152
	global_load_dwordx4 v[42:45], v2, s[4:5]
	v_mul_lo_u16_e32 v2, 17, v153
	v_sub_u16_e32 v154, v143, v2
	v_mul_u32_u24_sdwa v155, v142, s0 dst_sel:DWORD dst_unused:UNUSED_PAD src0_sel:WORD_0 src1_sel:DWORD
	v_lshlrev_b32_e32 v2, 4, v154
	v_lshrrev_b32_e32 v156, 20, v155
	global_load_dwordx4 v[46:49], v2, s[4:5]
	v_mul_lo_u16_e32 v2, 17, v156
	v_sub_u16_e32 v157, v142, v2
	v_lshlrev_b32_e32 v2, 4, v157
	global_load_dwordx4 v[50:53], v2, s[4:5]
	ds_read2_b64 v[54:57], v99 offset1:119
	ds_read2_b64 v[58:61], v136 offset0:56 offset1:175
	ds_read2_b64 v[62:65], v137 offset0:38 offset1:157
	;; [unrolled: 1-line block ×3, first 2 shown]
	ds_read_b64 v[2:3], v130
	ds_read_b64 v[6:7], v131
	;; [unrolled: 1-line block ×4, first 2 shown]
	ds_read2_b64 v[92:95], v135 offset0:130 offset1:249
	ds_read_b64 v[18:19], v140
	ds_read_b64 v[66:67], v141
	s_waitcnt lgkmcnt(0)
	s_barrier
	s_mov_b32 s0, 0x5040100
	s_movk_i32 s1, 0x110
	v_lshrrev_b32_e32 v146, 21, v146
	v_lshrrev_b32_e32 v149, 21, v149
	;; [unrolled: 1-line block ×3, first 2 shown]
	s_waitcnt vmcnt(7)
	v_mul_f64 v[104:105], v[58:59], v[24:25]
	v_mul_f64 v[24:25], v[72:73], v[24:25]
	s_waitcnt vmcnt(6)
	v_mul_f64 v[106:107], v[60:61], v[28:29]
	v_mul_f64 v[28:29], v[74:75], v[28:29]
	v_fma_f64 v[72:73], v[72:73], v[22:23], -v[104:105]
	v_fmac_f64_e32 v[24:25], v[58:59], v[22:23]
	v_fma_f64 v[22:23], v[74:75], v[26:27], -v[106:107]
	v_fmac_f64_e32 v[28:29], v[60:61], v[26:27]
	v_add_f64 v[22:23], v[70:71], -v[22:23]
	v_fma_f64 v[60:61], v[70:71], 2.0, -v[22:23]
	v_add_f64 v[24:25], v[54:55], -v[24:25]
	s_waitcnt vmcnt(5)
	v_mul_f64 v[108:109], v[62:63], v[32:33]
	v_mul_f64 v[32:33], v[76:77], v[32:33]
	s_waitcnt vmcnt(4)
	v_mul_f64 v[110:111], v[64:65], v[36:37]
	v_mul_f64 v[36:37], v[78:79], v[36:37]
	v_fma_f64 v[26:27], v[76:77], v[30:31], -v[108:109]
	v_fmac_f64_e32 v[32:33], v[62:63], v[30:31]
	v_fma_f64 v[30:31], v[78:79], v[34:35], -v[110:111]
	v_fmac_f64_e32 v[36:37], v[64:65], v[34:35]
	v_add_f64 v[62:63], v[2:3], -v[32:33]
	s_waitcnt vmcnt(3)
	v_mul_f64 v[112:113], v[88:89], v[40:41]
	v_mul_f64 v[40:41], v[84:85], v[40:41]
	v_fma_f64 v[34:35], v[84:85], v[38:39], -v[112:113]
	s_waitcnt vmcnt(2)
	v_mul_f64 v[114:115], v[90:91], v[44:45]
	v_mul_f64 v[44:45], v[86:87], v[44:45]
	v_fmac_f64_e32 v[40:41], v[88:89], v[38:39]
	v_fma_f64 v[38:39], v[86:87], v[42:43], -v[114:115]
	v_fmac_f64_e32 v[44:45], v[90:91], v[42:43]
	v_mov_b32_e32 v112, 3
	s_waitcnt vmcnt(1)
	v_mul_f64 v[42:43], v[92:93], v[48:49]
	v_mul_f64 v[48:49], v[80:81], v[48:49]
	v_fma_f64 v[42:43], v[80:81], v[46:47], -v[42:43]
	v_fmac_f64_e32 v[48:49], v[92:93], v[46:47]
	s_waitcnt vmcnt(0)
	v_mul_f64 v[46:47], v[94:95], v[52:53]
	v_mul_f64 v[52:53], v[82:83], v[52:53]
	v_fma_f64 v[46:47], v[82:83], v[50:51], -v[46:47]
	v_fmac_f64_e32 v[52:53], v[94:95], v[50:51]
	v_add_f64 v[50:51], v[68:69], -v[72:73]
	v_fma_f64 v[64:65], v[2:3], 2.0, -v[62:63]
	v_add_f64 v[2:3], v[16:17], -v[30:31]
	v_add_f64 v[30:31], v[6:7], -v[36:37]
	;; [unrolled: 1-line block ×5, first 2 shown]
	v_mul_u32_u24_e32 v38, 0x110, v117
	v_lshlrev_b32_sdwa v39, v112, v118 dst_sel:DWORD dst_unused:UNUSED_PAD src0_sel:DWORD src1_sel:BYTE_0
	v_fma_f64 v[58:59], v[68:69], 2.0, -v[50:51]
	v_fma_f64 v[52:53], v[66:67], 2.0, -v[46:47]
	v_add3_u32 v66, 0, v38, v39
	v_mul_u32_u24_e32 v38, 0x110, v121
	v_lshlrev_b32_sdwa v39, v112, v122 dst_sel:DWORD dst_unused:UNUSED_PAD src0_sel:DWORD src1_sel:BYTE_0
	ds_write2_b64 v66, v[58:59], v[50:51] offset1:17
	v_add3_u32 v50, 0, v38, v39
	ds_write2_b64 v50, v[60:61], v[22:23] offset1:17
	v_perm_b32 v22, v127, v124, s0
	v_pk_mul_lo_u16 v22, v22, s1 op_sel_hi:[1,0]
	v_add_f64 v[26:27], v[20:21], -v[26:27]
	v_and_b32_e32 v23, 0xfff0, v22
	v_lshlrev_b32_e32 v38, 3, v125
	v_fma_f64 v[20:21], v[20:21], 2.0, -v[26:27]
	v_add3_u32 v51, 0, v23, v38
	ds_write2_b64 v51, v[20:21], v[26:27] offset1:17
	v_lshrrev_b32_e32 v20, 16, v22
	v_lshlrev_b32_e32 v21, 3, v129
	v_fma_f64 v[16:17], v[16:17], 2.0, -v[2:3]
	v_add3_u32 v58, 0, v20, v21
	ds_write2_b64 v58, v[16:17], v[2:3] offset1:17
	v_perm_b32 v2, v150, v147, s0
	v_pk_mul_lo_u16 v2, v2, s1 op_sel_hi:[1,0]
	v_lshlrev_b32_e32 v16, 3, v148
	v_and_b32_e32 v3, 0xfff0, v2
	v_fma_f64 v[68:69], v[6:7], 2.0, -v[30:31]
	v_add_f64 v[6:7], v[8:9], -v[34:35]
	v_add3_u32 v59, 0, v3, v16
	v_lshrrev_b32_e32 v2, 16, v2
	v_lshlrev_b32_e32 v3, 3, v151
	v_fma_f64 v[8:9], v[8:9], 2.0, -v[6:7]
	v_fma_f64 v[0:1], v[0:1], 2.0, -v[32:33]
	v_add3_u32 v60, 0, v2, v3
	ds_write2_b64 v59, v[8:9], v[6:7] offset1:17
	ds_write2_b64 v60, v[0:1], v[32:33] offset1:17
	v_perm_b32 v0, v156, v153, s0
	v_pk_mul_lo_u16 v0, v0, s1 op_sel_hi:[1,0]
	v_lshlrev_b32_e32 v2, 3, v154
	v_and_b32_e32 v1, 0xfff0, v0
	v_add_f64 v[70:71], v[10:11], -v[40:41]
	v_add_f64 v[34:35], v[12:13], -v[42:43]
	v_add3_u32 v61, 0, v1, v2
	v_lshrrev_b32_e32 v0, 16, v0
	v_lshlrev_b32_e32 v1, 3, v157
	v_fma_f64 v[54:55], v[54:55], 2.0, -v[24:25]
	v_add_f64 v[28:29], v[56:57], -v[28:29]
	v_fma_f64 v[10:11], v[10:11], 2.0, -v[70:71]
	v_add_f64 v[44:45], v[14:15], -v[44:45]
	v_add_f64 v[48:49], v[18:19], -v[48:49]
	v_fma_f64 v[12:13], v[12:13], 2.0, -v[34:35]
	v_fma_f64 v[4:5], v[4:5], 2.0, -v[36:37]
	v_add3_u32 v67, 0, v0, v1
	v_lshrrev_b16_e32 v113, 13, v116
	v_fma_f64 v[56:57], v[56:57], 2.0, -v[28:29]
	v_fma_f64 v[14:15], v[14:15], 2.0, -v[44:45]
	;; [unrolled: 1-line block ×3, first 2 shown]
	ds_write2_b64 v61, v[12:13], v[34:35] offset1:17
	ds_write2_b64 v67, v[4:5], v[36:37] offset1:17
	s_waitcnt lgkmcnt(0)
	s_barrier
	ds_read2_b64 v[4:7], v99 offset1:119
	ds_read2_b64 v[40:43], v136 offset0:56 offset1:175
	ds_read2_b64 v[36:39], v137 offset0:38 offset1:157
	;; [unrolled: 1-line block ×3, first 2 shown]
	ds_read_b64 v[8:9], v130
	ds_read_b64 v[12:13], v131
	;; [unrolled: 1-line block ×4, first 2 shown]
	ds_read2_b64 v[32:35], v135 offset0:130 offset1:249
	ds_read_b64 v[22:23], v140
	ds_read_b64 v[26:27], v141
	s_waitcnt lgkmcnt(0)
	s_barrier
	ds_write2_b64 v66, v[54:55], v[24:25] offset1:17
	ds_write2_b64 v50, v[56:57], v[28:29] offset1:17
	;; [unrolled: 1-line block ×8, first 2 shown]
	v_mul_lo_u16_e32 v10, 34, v113
	v_lshrrev_b16_e32 v115, 13, v120
	v_sub_u16_e32 v114, v98, v10
	v_mul_lo_u16_e32 v11, 34, v115
	v_lshlrev_b32_sdwa v10, v119, v114 dst_sel:DWORD dst_unused:UNUSED_PAD src0_sel:DWORD src1_sel:BYTE_0
	v_sub_u16_e32 v147, v128, v11
	v_lshrrev_b32_e32 v148, 21, v123
	s_waitcnt lgkmcnt(0)
	s_barrier
	v_lshlrev_b32_sdwa v11, v119, v147 dst_sel:DWORD dst_unused:UNUSED_PAD src0_sel:DWORD src1_sel:BYTE_0
	global_load_dwordx4 v[48:51], v10, s[4:5] offset:272
	global_load_dwordx4 v[44:47], v11, s[4:5] offset:272
	v_mul_lo_u16_e32 v10, 34, v148
	v_lshrrev_b32_e32 v151, 21, v126
	v_sub_u16_e32 v150, v133, v10
	v_mul_lo_u16_e32 v11, 34, v151
	v_lshlrev_b32_e32 v10, 4, v150
	v_sub_u16_e32 v153, v134, v11
	v_lshlrev_b32_e32 v11, 4, v153
	global_load_dwordx4 v[56:59], v10, s[4:5] offset:272
	global_load_dwordx4 v[52:55], v11, s[4:5] offset:272
	v_mul_lo_u16_e32 v10, 34, v146
	v_sub_u16_e32 v145, v145, v10
	v_mul_lo_u16_e32 v11, 34, v149
	v_lshlrev_b32_e32 v10, 4, v145
	v_sub_u16_e32 v144, v144, v11
	v_lshlrev_b32_e32 v11, 4, v144
	global_load_dwordx4 v[64:67], v10, s[4:5] offset:272
	global_load_dwordx4 v[60:63], v11, s[4:5] offset:272
	v_mul_lo_u16_e32 v10, 34, v152
	v_lshrrev_b32_e32 v154, 21, v155
	v_sub_u16_e32 v143, v143, v10
	v_mul_lo_u16_e32 v11, 34, v154
	v_lshlrev_b32_e32 v10, 4, v143
	v_sub_u16_e32 v142, v142, v11
	global_load_dwordx4 v[76:79], v10, s[4:5] offset:272
	v_lshlrev_b32_e32 v10, 4, v142
	global_load_dwordx4 v[72:75], v10, s[4:5] offset:272
	ds_read2_b64 v[68:71], v99 offset1:119
	ds_read2_b64 v[92:95], v136 offset0:56 offset1:175
	ds_read2_b64 v[88:91], v137 offset0:38 offset1:157
	;; [unrolled: 1-line block ×3, first 2 shown]
	ds_read_b64 v[126:127], v130
	ds_read_b64 v[124:125], v131
	;; [unrolled: 1-line block ×4, first 2 shown]
	ds_read2_b64 v[80:83], v135 offset0:130 offset1:249
	ds_read_b64 v[120:121], v140
	ds_read_b64 v[116:117], v141
	s_waitcnt lgkmcnt(0)
	s_barrier
	s_movk_i32 s1, 0x220
	s_waitcnt vmcnt(7)
	v_mul_f64 v[10:11], v[92:93], v[50:51]
	v_fma_f64 v[10:11], v[40:41], v[48:49], -v[10:11]
	v_add_f64 v[10:11], v[4:5], -v[10:11]
	s_waitcnt vmcnt(6)
	v_mul_f64 v[14:15], v[94:95], v[46:47]
	v_fma_f64 v[4:5], v[4:5], 2.0, -v[10:11]
	v_fma_f64 v[14:15], v[42:43], v[44:45], -v[14:15]
	v_add_f64 v[14:15], v[6:7], -v[14:15]
	v_fma_f64 v[6:7], v[6:7], 2.0, -v[14:15]
	s_waitcnt vmcnt(5)
	v_mul_f64 v[18:19], v[88:89], v[58:59]
	s_waitcnt vmcnt(4)
	v_mul_f64 v[24:25], v[90:91], v[54:55]
	v_fma_f64 v[18:19], v[36:37], v[56:57], -v[18:19]
	v_fma_f64 v[24:25], v[38:39], v[52:53], -v[24:25]
	v_add_f64 v[18:19], v[8:9], -v[18:19]
	v_add_f64 v[24:25], v[12:13], -v[24:25]
	v_fma_f64 v[8:9], v[8:9], 2.0, -v[18:19]
	s_waitcnt vmcnt(3)
	v_mul_f64 v[28:29], v[84:85], v[66:67]
	s_waitcnt vmcnt(2)
	v_mul_f64 v[30:31], v[86:87], v[62:63]
	v_fma_f64 v[28:29], v[0:1], v[64:65], -v[28:29]
	v_fma_f64 v[30:31], v[2:3], v[60:61], -v[30:31]
	v_add_f64 v[28:29], v[16:17], -v[28:29]
	v_add_f64 v[30:31], v[20:21], -v[30:31]
	v_fma_f64 v[12:13], v[12:13], 2.0, -v[24:25]
	v_fma_f64 v[16:17], v[16:17], 2.0, -v[28:29]
	s_waitcnt vmcnt(1)
	v_mul_f64 v[104:105], v[80:81], v[78:79]
	v_fma_f64 v[104:105], v[32:33], v[76:77], -v[104:105]
	s_waitcnt vmcnt(0)
	v_mul_f64 v[106:107], v[82:83], v[74:75]
	v_fma_f64 v[106:107], v[34:35], v[72:73], -v[106:107]
	v_add_f64 v[110:111], v[26:27], -v[106:107]
	v_add_f64 v[108:109], v[22:23], -v[104:105]
	v_fma_f64 v[104:105], v[26:27], 2.0, -v[110:111]
	v_mul_u32_u24_e32 v26, 0x220, v113
	v_lshlrev_b32_sdwa v27, v112, v114 dst_sel:DWORD dst_unused:UNUSED_PAD src0_sel:DWORD src1_sel:BYTE_0
	v_add3_u32 v129, 0, v26, v27
	ds_write2_b64 v129, v[4:5], v[10:11] offset1:34
	v_mul_u32_u24_e32 v4, 0x220, v115
	v_lshlrev_b32_sdwa v5, v112, v147 dst_sel:DWORD dst_unused:UNUSED_PAD src0_sel:DWORD src1_sel:BYTE_0
	v_add3_u32 v136, 0, v4, v5
	v_perm_b32 v4, v151, v148, s0
	v_pk_mul_lo_u16 v4, v4, s1 op_sel_hi:[1,0]
	ds_write2_b64 v136, v[6:7], v[14:15] offset1:34
	v_and_b32_e32 v5, 0xffe0, v4
	v_lshlrev_b32_e32 v6, 3, v150
	v_add3_u32 v137, 0, v5, v6
	v_lshrrev_b32_e32 v4, 16, v4
	v_lshlrev_b32_e32 v5, 3, v153
	v_add3_u32 v138, 0, v4, v5
	v_perm_b32 v4, v149, v146, s0
	v_pk_mul_lo_u16 v4, v4, s1 op_sel_hi:[1,0]
	v_lshlrev_b32_e32 v6, 3, v145
	v_and_b32_e32 v5, 0xffe0, v4
	v_add3_u32 v139, 0, v5, v6
	v_lshrrev_b32_e32 v4, 16, v4
	v_lshlrev_b32_e32 v5, 3, v144
	v_add3_u32 v140, 0, v4, v5
	v_perm_b32 v4, v154, v152, s0
	v_pk_mul_lo_u16 v4, v4, s1 op_sel_hi:[1,0]
	v_lshlrev_b32_e32 v6, 3, v143
	v_and_b32_e32 v5, 0xffe0, v4
	v_add3_u32 v141, 0, v5, v6
	v_lshrrev_b32_e32 v4, 16, v4
	v_lshlrev_b32_e32 v5, 3, v142
	v_fma_f64 v[20:21], v[20:21], 2.0, -v[30:31]
	v_fma_f64 v[22:23], v[22:23], 2.0, -v[108:109]
	v_add3_u32 v142, 0, v4, v5
	v_add_u32_e32 v143, 0x800, v99
	v_add_u32_e32 v144, 0x1000, v99
	;; [unrolled: 1-line block ×5, first 2 shown]
	ds_write2_b64 v137, v[8:9], v[18:19] offset1:34
	ds_write2_b64 v138, v[12:13], v[24:25] offset1:34
	;; [unrolled: 1-line block ×6, first 2 shown]
	s_waitcnt lgkmcnt(0)
	s_barrier
	ds_read2_b64 v[4:7], v99 offset1:119
	ds_read2_b64 v[28:31], v143 offset0:16 offset1:135
	ds_read2_b64 v[24:27], v144 offset0:32 offset1:151
	;; [unrolled: 1-line block ×6, first 2 shown]
	v_cmp_gt_u32_e64 s[0:1], 34, v98
                                        ; implicit-def: $vgpr106_vgpr107
                                        ; implicit-def: $vgpr108_vgpr109
                                        ; implicit-def: $vgpr112_vgpr113
                                        ; implicit-def: $vgpr114_vgpr115
	s_and_saveexec_b64 s[2:3], s[0:1]
	s_cbranch_execz .LBB0_17
; %bb.16:
	ds_read_b64 v[110:111], v99 offset:4080
	ds_read_b64 v[100:101], v99 offset:6256
	;; [unrolled: 1-line block ×5, first 2 shown]
	ds_read_b64 v[104:105], v130
	ds_read_b64 v[106:107], v99 offset:14960
.LBB0_17:
	s_or_b64 exec, exec, s[2:3]
	v_mul_f64 v[40:41], v[40:41], v[50:51]
	v_mul_f64 v[42:43], v[42:43], v[46:47]
	;; [unrolled: 1-line block ×6, first 2 shown]
	v_fmac_f64_e32 v[40:41], v[92:93], v[48:49]
	v_fmac_f64_e32 v[42:43], v[94:95], v[44:45]
	;; [unrolled: 1-line block ×6, first 2 shown]
	v_mul_f64 v[32:33], v[32:33], v[78:79]
	v_mul_f64 v[34:35], v[34:35], v[74:75]
	v_fmac_f64_e32 v[32:33], v[80:81], v[76:77]
	v_fmac_f64_e32 v[34:35], v[82:83], v[72:73]
	v_add_f64 v[40:41], v[68:69], -v[40:41]
	v_add_f64 v[42:43], v[70:71], -v[42:43]
	;; [unrolled: 1-line block ×6, first 2 shown]
	v_fma_f64 v[44:45], v[68:69], 2.0, -v[40:41]
	v_fma_f64 v[46:47], v[70:71], 2.0, -v[42:43]
	;; [unrolled: 1-line block ×6, first 2 shown]
	v_add_f64 v[32:33], v[120:121], -v[32:33]
	v_add_f64 v[66:67], v[116:117], -v[34:35]
	v_fma_f64 v[58:59], v[120:121], 2.0, -v[32:33]
	v_fma_f64 v[56:57], v[116:117], 2.0, -v[66:67]
	s_waitcnt lgkmcnt(0)
	s_barrier
	ds_write2_b64 v129, v[44:45], v[40:41] offset1:34
	ds_write2_b64 v136, v[46:47], v[42:43] offset1:34
	ds_write2_b64 v137, v[48:49], v[36:37] offset1:34
	ds_write2_b64 v138, v[50:51], v[38:39] offset1:34
	ds_write2_b64 v139, v[52:53], v[0:1] offset1:34
	ds_write2_b64 v140, v[54:55], v[2:3] offset1:34
	ds_write2_b64 v141, v[58:59], v[32:33] offset1:34
	ds_write2_b64 v142, v[56:57], v[66:67] offset1:34
	s_waitcnt lgkmcnt(0)
	s_barrier
	ds_read2_b64 v[0:3], v99 offset1:119
	ds_read2_b64 v[52:55], v143 offset0:16 offset1:135
	ds_read2_b64 v[48:51], v144 offset0:32 offset1:151
	;; [unrolled: 1-line block ×5, first 2 shown]
	v_add_u32_e32 v32, 0x3000, v99
	ds_read2_b64 v[32:35], v32 offset0:96 offset1:215
                                        ; implicit-def: $vgpr60_vgpr61
                                        ; implicit-def: $vgpr62_vgpr63
                                        ; implicit-def: $vgpr78_vgpr79
                                        ; implicit-def: $vgpr74_vgpr75
	s_and_saveexec_b64 s[2:3], s[0:1]
	s_cbranch_execz .LBB0_19
; %bb.18:
	ds_read_b64 v[66:67], v99 offset:4080
	ds_read_b64 v[102:103], v99 offset:6256
	;; [unrolled: 1-line block ×5, first 2 shown]
	ds_read_b64 v[56:57], v130
	ds_read_b64 v[60:61], v99 offset:14960
.LBB0_19:
	s_or_b64 exec, exec, s[2:3]
	s_movk_i32 s2, 0x44
	v_add_u32_e32 v58, 0xffffffbc, v98
	v_cmp_gt_u32_e64 s[2:3], s2, v98
	v_mov_b32_e32 v59, 0
	s_mov_b32 s8, 0x37e14327
	v_cndmask_b32_e64 v84, v58, v98, s[2:3]
	v_mul_i32_i24_e32 v58, 6, v84
	v_lshl_add_u64 v[64:65], v[58:59], 4, s[4:5]
	global_load_dwordx4 v[68:71], v[64:65], off offset:864
	global_load_dwordx4 v[80:83], v[64:65], off offset:848
	;; [unrolled: 1-line block ×4, first 2 shown]
	s_movk_i32 s2, 0x79
	s_mov_b32 s6, 0x36b3c0b5
	s_mov_b32 s12, 0xe976ee23
	;; [unrolled: 1-line block ×19, first 2 shown]
	s_waitcnt vmcnt(0) lgkmcnt(5)
	v_mul_f64 v[58:59], v[52:53], v[92:93]
	v_fma_f64 v[58:59], v[28:29], v[90:91], -v[58:59]
	v_mul_f64 v[28:29], v[28:29], v[92:93]
	v_fmac_f64_e32 v[28:29], v[52:53], v[90:91]
	s_waitcnt lgkmcnt(4)
	v_mul_f64 v[52:53], v[48:49], v[88:89]
	v_fma_f64 v[52:53], v[24:25], v[86:87], -v[52:53]
	v_mul_f64 v[24:25], v[24:25], v[88:89]
	v_fmac_f64_e32 v[24:25], v[48:49], v[86:87]
	s_waitcnt lgkmcnt(3)
	v_mul_f64 v[48:49], v[44:45], v[82:83]
	v_fma_f64 v[48:49], v[20:21], v[80:81], -v[48:49]
	v_mul_f64 v[20:21], v[20:21], v[82:83]
	v_fmac_f64_e32 v[20:21], v[44:45], v[80:81]
	s_waitcnt lgkmcnt(2)
	v_mul_f64 v[44:45], v[40:41], v[70:71]
	v_fma_f64 v[44:45], v[16:17], v[68:69], -v[44:45]
	v_mul_f64 v[16:17], v[16:17], v[70:71]
	v_fmac_f64_e32 v[16:17], v[40:41], v[68:69]
	global_load_dwordx4 v[68:71], v[64:65], off offset:896
	global_load_dwordx4 v[80:83], v[64:65], off offset:880
	s_waitcnt vmcnt(0) lgkmcnt(1)
	v_mul_f64 v[40:41], v[36:37], v[82:83]
	v_fma_f64 v[40:41], v[12:13], v[80:81], -v[40:41]
	v_mul_f64 v[12:13], v[12:13], v[82:83]
	v_fmac_f64_e32 v[12:13], v[36:37], v[80:81]
	s_waitcnt lgkmcnt(0)
	v_mul_f64 v[36:37], v[32:33], v[70:71]
	v_fma_f64 v[36:37], v[8:9], v[68:69], -v[36:37]
	v_mul_f64 v[8:9], v[8:9], v[70:71]
	v_fmac_f64_e32 v[8:9], v[32:33], v[68:69]
	v_mul_lo_u16_sdwa v32, v128, s2 dst_sel:DWORD dst_unused:UNUSED_PAD src0_sel:BYTE_0 src1_sel:DWORD
	v_lshrrev_b16_e32 v85, 13, v32
	v_mul_lo_u16_e32 v32, 0x44, v85
	v_sub_u16_e32 v86, v128, v32
	v_mov_b32_e32 v32, 6
	v_mul_u32_u24_sdwa v32, v86, v32 dst_sel:DWORD dst_unused:UNUSED_PAD src0_sel:BYTE_0 src1_sel:DWORD
	v_lshlrev_b32_e32 v64, 4, v32
	global_load_dwordx4 v[68:71], v64, s[4:5] offset:864
	global_load_dwordx4 v[80:83], v64, s[4:5] offset:848
	;; [unrolled: 1-line block ×4, first 2 shown]
	s_mov_b32 s2, 0xf0f1
	s_waitcnt vmcnt(0)
	v_mul_f64 v[32:33], v[54:55], v[94:95]
	v_fma_f64 v[32:33], v[30:31], v[92:93], -v[32:33]
	v_mul_f64 v[30:31], v[30:31], v[94:95]
	v_fmac_f64_e32 v[30:31], v[54:55], v[92:93]
	v_mul_f64 v[54:55], v[50:51], v[90:91]
	v_fma_f64 v[54:55], v[26:27], v[88:89], -v[54:55]
	v_mul_f64 v[26:27], v[26:27], v[90:91]
	v_fmac_f64_e32 v[26:27], v[50:51], v[88:89]
	;; [unrolled: 4-line block ×4, first 2 shown]
	global_load_dwordx4 v[68:71], v64, s[4:5] offset:896
	global_load_dwordx4 v[80:83], v64, s[4:5] offset:880
	s_waitcnt vmcnt(0)
	v_mul_f64 v[42:43], v[38:39], v[82:83]
	v_fma_f64 v[42:43], v[14:15], v[80:81], -v[42:43]
	v_mul_f64 v[14:15], v[14:15], v[82:83]
	v_fmac_f64_e32 v[14:15], v[38:39], v[80:81]
	v_mul_f64 v[38:39], v[34:35], v[70:71]
	v_fma_f64 v[38:39], v[10:11], v[68:69], -v[38:39]
	v_mul_f64 v[10:11], v[10:11], v[70:71]
	v_fmac_f64_e32 v[10:11], v[34:35], v[68:69]
	v_mul_u32_u24_sdwa v34, v133, s2 dst_sel:DWORD dst_unused:UNUSED_PAD src0_sel:WORD_0 src1_sel:DWORD
	v_lshrrev_b32_e32 v34, 22, v34
	v_mul_lo_u16_e32 v34, 0x44, v34
	v_sub_u16_e32 v87, v133, v34
	v_mul_u32_u24_e32 v34, 6, v87
	v_lshlrev_b32_e32 v116, 4, v34
	global_load_dwordx4 v[80:83], v116, s[4:5] offset:864
	global_load_dwordx4 v[88:91], v116, s[4:5] offset:848
	;; [unrolled: 1-line block ×4, first 2 shown]
	s_movk_i32 s2, 0x43
	v_cmp_lt_u32_e64 s[2:3], s2, v98
	s_waitcnt vmcnt(3)
	v_mul_f64 v[76:77], v[112:113], v[82:83]
	v_fmac_f64_e32 v[76:77], v[78:79], v[80:81]
	s_waitcnt vmcnt(1)
	v_mul_f64 v[68:69], v[100:101], v[72:73]
	s_waitcnt vmcnt(0)
	v_mul_f64 v[64:65], v[110:111], v[94:95]
	v_mul_f64 v[34:35], v[66:67], v[94:95]
	v_fmac_f64_e32 v[64:65], v[66:67], v[92:93]
	v_mul_f64 v[66:67], v[102:103], v[72:73]
	v_fma_f64 v[66:67], v[100:101], v[70:71], -v[66:67]
	v_fmac_f64_e32 v[68:69], v[102:103], v[70:71]
	v_mul_f64 v[70:71], v[74:75], v[90:91]
	v_mul_f64 v[72:73], v[114:115], v[90:91]
	v_fma_f64 v[34:35], v[110:111], v[92:93], -v[34:35]
	v_fma_f64 v[70:71], v[114:115], v[88:89], -v[70:71]
	v_fmac_f64_e32 v[72:73], v[74:75], v[88:89]
	global_load_dwordx4 v[88:91], v116, s[4:5] offset:896
	global_load_dwordx4 v[92:95], v116, s[4:5] offset:880
	v_mul_f64 v[74:75], v[78:79], v[82:83]
	v_fma_f64 v[74:75], v[112:113], v[80:81], -v[74:75]
	v_add_f64 v[100:101], v[16:17], -v[20:21]
	v_add_f64 v[112:113], v[50:51], v[46:47]
	v_add_f64 v[114:115], v[18:19], -v[22:23]
	s_barrier
	s_waitcnt vmcnt(1)
	v_mul_f64 v[82:83], v[106:107], v[90:91]
	s_waitcnt vmcnt(0)
	v_mul_f64 v[80:81], v[108:109], v[94:95]
	v_mul_f64 v[78:79], v[62:63], v[94:95]
	v_fmac_f64_e32 v[80:81], v[62:63], v[92:93]
	v_mul_f64 v[62:63], v[60:61], v[90:91]
	v_fmac_f64_e32 v[82:83], v[60:61], v[88:89]
	v_add_f64 v[60:61], v[58:59], v[36:37]
	v_add_f64 v[90:91], v[52:53], v[40:41]
	v_fma_f64 v[78:79], v[108:109], v[92:93], -v[78:79]
	v_fma_f64 v[62:63], v[106:107], v[88:89], -v[62:63]
	v_add_f64 v[88:89], v[28:29], -v[8:9]
	v_add_f64 v[92:93], v[24:25], -v[12:13]
	v_add_f64 v[94:95], v[48:49], v[44:45]
	v_add_f64 v[102:103], v[90:91], v[60:61]
	v_add_f64 v[106:107], v[90:91], -v[60:61]
	v_add_f64 v[60:61], v[60:61], -v[94:95]
	;; [unrolled: 1-line block ×3, first 2 shown]
	v_add_f64 v[108:109], v[100:101], v[92:93]
	v_add_f64 v[110:111], v[100:101], -v[92:93]
	v_add_f64 v[92:93], v[92:93], -v[88:89]
	v_add_f64 v[94:95], v[94:95], v[102:103]
	v_add_f64 v[100:101], v[88:89], -v[100:101]
	v_add_f64 v[88:89], v[108:109], v[88:89]
	v_add_f64 v[4:5], v[4:5], v[94:95]
	v_mul_f64 v[60:61], v[60:61], s[8:9]
	v_mul_f64 v[102:103], v[90:91], s[6:7]
	;; [unrolled: 1-line block ×4, first 2 shown]
	v_fma_f64 v[94:95], s[14:15], v[94:95], v[4:5]
	v_fma_f64 v[102:103], v[106:107], s[16:17], -v[102:103]
	v_fma_f64 v[106:107], v[106:107], s[18:19], -v[60:61]
	v_fmac_f64_e32 v[60:61], s[6:7], v[90:91]
	v_fma_f64 v[90:91], v[92:93], s[10:11], -v[108:109]
	v_fmac_f64_e32 v[108:109], s[20:21], v[100:101]
	v_fma_f64 v[92:93], v[100:101], s[24:25], -v[110:111]
	v_add_f64 v[60:61], v[60:61], v[94:95]
	v_add_f64 v[100:101], v[102:103], v[94:95]
	;; [unrolled: 1-line block ×3, first 2 shown]
	v_fmac_f64_e32 v[108:109], s[22:23], v[88:89]
	v_fmac_f64_e32 v[92:93], s[22:23], v[88:89]
	;; [unrolled: 1-line block ×3, first 2 shown]
	v_add_f64 v[88:89], v[108:109], v[60:61]
	v_add_f64 v[102:103], v[92:93], v[94:95]
	v_add_f64 v[92:93], v[94:95], -v[92:93]
	v_add_f64 v[94:95], v[60:61], -v[108:109]
	v_add_f64 v[60:61], v[32:33], v[38:39]
	v_add_f64 v[108:109], v[54:55], v[42:43]
	v_add_f64 v[106:107], v[100:101], -v[90:91]
	v_add_f64 v[90:91], v[90:91], v[100:101]
	v_add_f64 v[100:101], v[30:31], -v[10:11]
	v_add_f64 v[110:111], v[26:27], -v[14:15]
	v_add_f64 v[116:117], v[108:109], v[60:61]
	v_add_f64 v[118:119], v[108:109], -v[60:61]
	v_add_f64 v[60:61], v[60:61], -v[112:113]
	;; [unrolled: 1-line block ×3, first 2 shown]
	v_add_f64 v[120:121], v[114:115], v[110:111]
	v_add_f64 v[122:123], v[114:115], -v[110:111]
	v_add_f64 v[110:111], v[110:111], -v[100:101]
	v_add_f64 v[112:113], v[112:113], v[116:117]
	v_add_f64 v[114:115], v[100:101], -v[114:115]
	v_add_f64 v[100:101], v[120:121], v[100:101]
	v_add_f64 v[6:7], v[6:7], v[112:113]
	v_mul_f64 v[60:61], v[60:61], s[8:9]
	v_mul_f64 v[116:117], v[108:109], s[6:7]
	;; [unrolled: 1-line block ×4, first 2 shown]
	v_fma_f64 v[112:113], s[14:15], v[112:113], v[6:7]
	v_fma_f64 v[116:117], v[118:119], s[16:17], -v[116:117]
	v_fma_f64 v[118:119], v[118:119], s[18:19], -v[60:61]
	v_fmac_f64_e32 v[60:61], s[6:7], v[108:109]
	v_fma_f64 v[108:109], v[110:111], s[10:11], -v[120:121]
	v_fmac_f64_e32 v[120:121], s[20:21], v[114:115]
	v_fma_f64 v[110:111], v[114:115], s[24:25], -v[122:123]
	v_add_f64 v[60:61], v[60:61], v[112:113]
	v_add_f64 v[114:115], v[116:117], v[112:113]
	;; [unrolled: 1-line block ×3, first 2 shown]
	v_fmac_f64_e32 v[120:121], s[22:23], v[100:101]
	v_fmac_f64_e32 v[110:111], s[22:23], v[100:101]
	;; [unrolled: 1-line block ×3, first 2 shown]
	v_add_f64 v[100:101], v[120:121], v[60:61]
	v_add_f64 v[116:117], v[110:111], v[112:113]
	v_add_f64 v[110:111], v[112:113], -v[110:111]
	v_add_f64 v[112:113], v[60:61], -v[120:121]
	v_mov_b32_e32 v60, 0xee0
	v_cndmask_b32_e64 v60, 0, v60, s[2:3]
	v_lshlrev_b32_e32 v61, 3, v84
	v_add3_u32 v61, 0, v60, v61
	ds_write2_b64 v61, v[4:5], v[88:89] offset1:68
	ds_write2_b64 v61, v[102:103], v[106:107] offset0:136 offset1:204
	v_mov_b32_e32 v5, 3
	v_mul_u32_u24_e32 v4, 0xee0, v85
	v_lshlrev_b32_sdwa v5, v5, v86 dst_sel:DWORD dst_unused:UNUSED_PAD src0_sel:DWORD src1_sel:BYTE_0
	v_add3_u32 v85, 0, v4, v5
	v_add_f64 v[118:119], v[114:115], -v[108:109]
	v_add_f64 v[108:109], v[108:109], v[114:115]
	v_add_u32_e32 v84, 0x800, v61
	v_add_u32_e32 v86, 0x800, v85
	v_lshl_add_u32 v60, v87, 3, 0
	ds_write2_b64 v84, v[90:91], v[92:93] offset0:16 offset1:84
	ds_write_b64 v61, v[94:95] offset:3264
	ds_write2_b64 v85, v[6:7], v[100:101] offset1:68
	ds_write2_b64 v85, v[116:117], v[118:119] offset0:136 offset1:204
	ds_write2_b64 v86, v[108:109], v[110:111] offset0:16 offset1:84
	ds_write_b64 v85, v[112:113] offset:3264
	s_and_saveexec_b64 s[2:3], s[0:1]
	s_cbranch_execz .LBB0_21
; %bb.20:
	v_add_f64 v[6:7], v[66:67], v[78:79]
	v_add_f64 v[92:93], v[34:35], v[62:63]
	;; [unrolled: 1-line block ×4, first 2 shown]
	v_add_f64 v[88:89], v[4:5], -v[6:7]
	v_add_f64 v[94:95], v[92:93], -v[4:5]
	v_add_f64 v[4:5], v[4:5], v[100:101]
	v_add_f64 v[100:101], v[104:105], v[4:5]
	v_add_f64 v[102:103], v[76:77], -v[72:73]
	v_add_f64 v[104:105], v[68:69], -v[80:81]
	v_mul_f64 v[94:95], v[94:95], s[8:9]
	v_add_f64 v[108:109], v[64:65], -v[82:83]
	v_add_f64 v[110:111], v[102:103], -v[104:105]
	;; [unrolled: 1-line block ×3, first 2 shown]
	v_mul_f64 v[90:91], v[88:89], s[6:7]
	v_fma_f64 v[88:89], s[6:7], v[88:89], v[94:95]
	v_add_f64 v[106:107], v[102:103], v[104:105]
	v_mul_f64 v[110:111], v[110:111], s[12:13]
	v_add_f64 v[102:103], v[108:109], -v[102:103]
	v_fma_f64 v[92:93], v[6:7], s[18:19], -v[94:95]
	v_add_f64 v[94:95], v[104:105], -v[108:109]
	v_fma_f64 v[4:5], s[14:15], v[4:5], v[100:101]
	v_add_f64 v[106:107], v[106:107], v[108:109]
	v_fma_f64 v[112:113], s[20:21], v[102:103], v[110:111]
	v_mul_f64 v[104:105], v[94:95], s[10:11]
	v_add_f64 v[88:89], v[88:89], v[4:5]
	v_fmac_f64_e32 v[112:113], s[22:23], v[106:107]
	v_fma_f64 v[102:103], v[102:103], s[24:25], -v[104:105]
	v_fma_f64 v[94:95], v[94:95], s[10:11], -v[110:111]
	;; [unrolled: 1-line block ×3, first 2 shown]
	v_add_f64 v[114:115], v[88:89], -v[112:113]
	v_add_f64 v[92:93], v[92:93], v[4:5]
	v_fmac_f64_e32 v[102:103], s[22:23], v[106:107]
	v_fmac_f64_e32 v[94:95], s[22:23], v[106:107]
	v_add_f64 v[4:5], v[6:7], v[4:5]
	v_add_f64 v[88:89], v[112:113], v[88:89]
	v_add_u32_e32 v87, 0x2800, v60
	v_add_f64 v[6:7], v[94:95], v[4:5]
	v_add_f64 v[4:5], v[4:5], -v[94:95]
	v_add_f64 v[90:91], v[102:103], v[92:93]
	ds_write2_b64 v87, v[100:101], v[88:89] offset0:148 offset1:216
	v_add_u32_e32 v87, 0x3000, v60
	v_add_f64 v[104:105], v[92:93], -v[102:103]
	ds_write2_b64 v87, v[90:91], v[4:5] offset0:28 offset1:96
	ds_write2_b64 v87, v[6:7], v[104:105] offset0:164 offset1:232
	ds_write_b64 v60, v[114:115] offset:14688
.LBB0_21:
	s_or_b64 exec, exec, s[2:3]
	v_add_f64 v[4:5], v[28:29], v[8:9]
	v_add_f64 v[8:9], v[24:25], v[12:13]
	v_add_f64 v[12:13], v[52:53], -v[40:41]
	v_add_f64 v[16:17], v[20:21], v[16:17]
	v_add_f64 v[20:21], v[44:45], -v[48:49]
	;; [unrolled: 2-line block ×3, first 2 shown]
	v_add_f64 v[28:29], v[8:9], -v[4:5]
	v_add_f64 v[4:5], v[4:5], -v[16:17]
	;; [unrolled: 1-line block ×3, first 2 shown]
	v_add_f64 v[36:37], v[20:21], v[12:13]
	v_add_f64 v[40:41], v[20:21], -v[12:13]
	v_add_f64 v[16:17], v[16:17], v[24:25]
	v_add_f64 v[20:21], v[6:7], -v[20:21]
	v_add_f64 v[12:13], v[12:13], -v[6:7]
	v_add_f64 v[6:7], v[36:37], v[6:7]
	v_add_f64 v[24:25], v[0:1], v[16:17]
	v_mul_f64 v[0:1], v[4:5], s[8:9]
	v_mul_f64 v[4:5], v[8:9], s[6:7]
	;; [unrolled: 1-line block ×4, first 2 shown]
	v_fma_f64 v[16:17], s[14:15], v[16:17], v[24:25]
	v_fma_f64 v[4:5], v[28:29], s[16:17], -v[4:5]
	v_fma_f64 v[28:29], v[28:29], s[18:19], -v[0:1]
	v_fmac_f64_e32 v[0:1], s[6:7], v[8:9]
	v_fma_f64 v[8:9], v[12:13], s[10:11], -v[36:37]
	v_fmac_f64_e32 v[36:37], s[20:21], v[20:21]
	v_fma_f64 v[12:13], v[20:21], s[24:25], -v[40:41]
	v_add_f64 v[0:1], v[0:1], v[16:17]
	v_fmac_f64_e32 v[36:37], s[22:23], v[6:7]
	v_add_f64 v[4:5], v[4:5], v[16:17]
	v_add_f64 v[16:17], v[28:29], v[16:17]
	v_fmac_f64_e32 v[8:9], s[22:23], v[6:7]
	v_fmac_f64_e32 v[12:13], s[22:23], v[6:7]
	v_add_f64 v[28:29], v[0:1], -v[36:37]
	v_add_f64 v[36:37], v[36:37], v[0:1]
	v_add_f64 v[0:1], v[30:31], v[10:11]
	;; [unrolled: 1-line block ×3, first 2 shown]
	v_add_f64 v[40:41], v[16:17], -v[12:13]
	v_add_f64 v[44:45], v[8:9], v[4:5]
	v_add_f64 v[48:49], v[4:5], -v[8:9]
	v_add_f64 v[88:89], v[12:13], v[16:17]
	v_add_f64 v[4:5], v[32:33], -v[38:39]
	v_add_f64 v[8:9], v[54:55], -v[42:43]
	v_add_f64 v[10:11], v[22:23], v[18:19]
	v_add_f64 v[12:13], v[46:47], -v[50:51]
	v_add_f64 v[14:15], v[6:7], v[0:1]
	v_add_f64 v[16:17], v[6:7], -v[0:1]
	v_add_f64 v[0:1], v[0:1], -v[10:11]
	;; [unrolled: 1-line block ×3, first 2 shown]
	v_add_f64 v[18:19], v[12:13], v[8:9]
	v_add_f64 v[20:21], v[12:13], -v[8:9]
	v_add_f64 v[8:9], v[8:9], -v[4:5]
	v_add_f64 v[10:11], v[10:11], v[14:15]
	v_add_f64 v[12:13], v[4:5], -v[12:13]
	v_add_f64 v[4:5], v[18:19], v[4:5]
	v_add_f64 v[26:27], v[2:3], v[10:11]
	v_mul_f64 v[0:1], v[0:1], s[8:9]
	v_mul_f64 v[2:3], v[6:7], s[6:7]
	;; [unrolled: 1-line block ×4, first 2 shown]
	v_fma_f64 v[10:11], s[14:15], v[10:11], v[26:27]
	v_fma_f64 v[2:3], v[16:17], s[16:17], -v[2:3]
	v_fma_f64 v[16:17], v[16:17], s[18:19], -v[0:1]
	v_fmac_f64_e32 v[0:1], s[6:7], v[6:7]
	v_fma_f64 v[6:7], v[8:9], s[10:11], -v[14:15]
	v_fmac_f64_e32 v[14:15], s[20:21], v[12:13]
	v_fma_f64 v[8:9], v[12:13], s[24:25], -v[18:19]
	v_add_f64 v[0:1], v[0:1], v[10:11]
	v_add_f64 v[2:3], v[2:3], v[10:11]
	;; [unrolled: 1-line block ×3, first 2 shown]
	v_fmac_f64_e32 v[14:15], s[22:23], v[4:5]
	v_fmac_f64_e32 v[6:7], s[22:23], v[4:5]
	;; [unrolled: 1-line block ×3, first 2 shown]
	v_add_u32_e32 v4, 0x1800, v99
	v_add_u32_e32 v16, 0x2000, v99
	v_add_f64 v[32:33], v[10:11], -v[8:9]
	v_add_f64 v[46:47], v[8:9], v[10:11]
	s_waitcnt lgkmcnt(0)
	s_barrier
	ds_read2_b64 v[8:11], v4 offset0:65 offset1:184
	v_add_u32_e32 v4, 0x2800, v99
	v_add_u32_e32 v12, 0x1000, v99
	ds_read2_b64 v[20:23], v16 offset0:47 offset1:166
	v_add_u32_e32 v16, 0x3000, v99
	v_add_f64 v[30:31], v[0:1], -v[14:15]
	v_add_f64 v[38:39], v[6:7], v[2:3]
	v_add_f64 v[42:43], v[2:3], -v[6:7]
	v_add_f64 v[90:91], v[14:15], v[0:1]
	ds_read2_b64 v[0:3], v99 offset1:119
	ds_read2_b64 v[4:7], v4 offset0:29 offset1:148
	ds_read2_b64 v[12:15], v12 offset0:83 offset1:202
	;; [unrolled: 1-line block ×3, first 2 shown]
	ds_read_b64 v[50:51], v132
	ds_read_b64 v[54:55], v131
	;; [unrolled: 1-line block ×3, first 2 shown]
	ds_read_b64 v[58:59], v99 offset:14280
	s_waitcnt lgkmcnt(0)
	s_barrier
	ds_write2_b64 v61, v[24:25], v[28:29] offset1:68
	ds_write2_b64 v61, v[40:41], v[44:45] offset0:136 offset1:204
	ds_write2_b64 v84, v[48:49], v[88:89] offset0:16 offset1:84
	ds_write_b64 v61, v[36:37] offset:3264
	ds_write2_b64 v85, v[26:27], v[30:31] offset1:68
	ds_write2_b64 v85, v[32:33], v[38:39] offset0:136 offset1:204
	ds_write2_b64 v86, v[42:43], v[46:47] offset0:16 offset1:84
	ds_write_b64 v85, v[90:91] offset:3264
	s_and_saveexec_b64 s[2:3], s[0:1]
	s_cbranch_execz .LBB0_23
; %bb.22:
	v_add_f64 v[24:25], v[64:65], v[82:83]
	v_add_f64 v[28:29], v[68:69], v[80:81]
	;; [unrolled: 1-line block ×3, first 2 shown]
	s_mov_b32 s0, 0x37e14327
	v_add_f64 v[36:37], v[28:29], v[24:25]
	v_add_f64 v[38:39], v[28:29], -v[24:25]
	v_add_f64 v[24:25], v[24:25], -v[32:33]
	s_mov_b32 s1, 0x3fe948f6
	v_add_f64 v[26:27], v[34:35], -v[62:63]
	v_add_f64 v[30:31], v[66:67], -v[78:79]
	;; [unrolled: 1-line block ×4, first 2 shown]
	v_add_f64 v[32:33], v[32:33], v[36:37]
	v_mul_f64 v[24:25], v[24:25], s[0:1]
	s_mov_b32 s0, 0x36b3c0b5
	s_mov_b32 s8, 0xaaaaaaaa
	v_add_f64 v[40:41], v[34:35], v[30:31]
	v_add_f64 v[36:37], v[56:57], v[32:33]
	s_mov_b32 s1, 0x3fac98ee
	s_mov_b32 s6, 0xe976ee23
	;; [unrolled: 1-line block ×3, first 2 shown]
	v_add_f64 v[42:43], v[34:35], -v[30:31]
	v_add_f64 v[34:35], v[26:27], -v[34:35]
	;; [unrolled: 1-line block ×3, first 2 shown]
	v_add_f64 v[26:27], v[40:41], v[26:27]
	v_mul_f64 v[40:41], v[28:29], s[0:1]
	s_mov_b32 s7, 0xbfe11646
	v_fma_f64 v[32:33], s[8:9], v[32:33], v[36:37]
	s_mov_b32 s9, 0x3fe77f67
	s_mov_b32 s8, 0x5476071b
	v_mul_f64 v[42:43], v[42:43], s[6:7]
	s_mov_b32 s6, 0x429ad128
	v_fma_f64 v[40:41], v[38:39], s[8:9], -v[40:41]
	s_mov_b32 s9, 0xbfe77f67
	s_mov_b32 s7, 0x3febfeb5
	v_fma_f64 v[38:39], v[38:39], s[8:9], -v[24:25]
	v_fmac_f64_e32 v[24:25], s[0:1], v[28:29]
	s_mov_b32 s1, 0x3fd5d0dc
	s_mov_b32 s0, 0xb247c609
	v_mul_f64 v[44:45], v[30:31], s[6:7]
	v_fma_f64 v[28:29], v[30:31], s[6:7], -v[42:43]
	v_fmac_f64_e32 v[42:43], s[0:1], v[34:35]
	s_mov_b32 s1, 0xbfd5d0dc
	v_fma_f64 v[30:31], v[34:35], s[0:1], -v[44:45]
	s_mov_b32 s0, 0x37c3f68c
	s_mov_b32 s1, 0x3fdc38aa
	v_add_f64 v[24:25], v[24:25], v[32:33]
	v_add_f64 v[34:35], v[40:41], v[32:33]
	;; [unrolled: 1-line block ×3, first 2 shown]
	v_fmac_f64_e32 v[42:43], s[0:1], v[26:27]
	v_fmac_f64_e32 v[30:31], s[0:1], v[26:27]
	;; [unrolled: 1-line block ×3, first 2 shown]
	v_add_f64 v[26:27], v[24:25], -v[42:43]
	v_add_f64 v[38:39], v[32:33], -v[30:31]
	v_add_f64 v[30:31], v[30:31], v[32:33]
	v_add_u32_e32 v32, 0x2800, v60
	v_add_f64 v[40:41], v[28:29], v[34:35]
	ds_write2_b64 v32, v[36:37], v[26:27] offset0:148 offset1:216
	v_add_u32_e32 v26, 0x3000, v60
	v_add_f64 v[28:29], v[34:35], -v[28:29]
	v_add_f64 v[24:25], v[42:43], v[24:25]
	ds_write2_b64 v26, v[38:39], v[40:41] offset0:28 offset1:96
	ds_write2_b64 v26, v[28:29], v[30:31] offset0:164 offset1:232
	ds_write_b64 v60, v[24:25] offset:14688
.LBB0_23:
	s_or_b64 exec, exec, s[2:3]
	s_waitcnt lgkmcnt(0)
	s_barrier
	s_and_saveexec_b64 s[0:1], vcc
	s_cbranch_execz .LBB0_25
; %bb.24:
	v_mul_u32_u24_e32 v24, 3, v134
	v_lshlrev_b32_e32 v48, 4, v24
	v_mov_b32_e32 v49, 0
	v_lshl_add_u64 v[28:29], s[4:5], 0, v[48:49]
	s_mov_b64 s[0:1], 0x1cb0
	v_lshl_add_u64 v[30:31], v[28:29], 0, s[0:1]
	v_add_co_u32_e32 v28, vcc, 0x1000, v28
	global_load_dwordx4 v[24:27], v[30:31], off offset:32
	global_load_dwordx4 v[32:35], v[30:31], off offset:16
	v_addc_co_u32_e32 v29, vcc, 0, v29, vcc
	global_load_dwordx4 v[28:31], v[28:29], off offset:3248
	v_mul_u32_u24_e32 v36, 3, v133
	v_lshlrev_b32_e32 v48, 4, v36
	v_lshl_add_u64 v[36:37], s[4:5], 0, v[48:49]
	s_movk_i32 s2, 0x1000
	v_add_co_u32_e32 v60, vcc, s2, v36
	v_lshl_add_u64 v[56:57], v[36:37], 0, s[0:1]
	global_load_dwordx4 v[40:43], v[56:57], off offset:16
	v_addc_co_u32_e32 v61, vcc, 0, v37, vcc
	global_load_dwordx4 v[44:47], v[60:61], off offset:3248
	global_load_dwordx4 v[36:39], v[56:57], off offset:32
	v_mul_u32_u24_e32 v48, 3, v128
	v_lshlrev_b32_e32 v48, 4, v48
	v_lshl_add_u64 v[68:69], s[4:5], 0, v[48:49]
	v_lshl_add_u64 v[70:71], v[68:69], 0, s[0:1]
	v_add_co_u32_e32 v68, vcc, s2, v68
	v_add_u32_e32 v72, 0x2800, v99
	s_nop 0
	v_addc_co_u32_e32 v69, vcc, 0, v69, vcc
	v_add_u32_e32 v76, 0x1800, v99
	ds_read_b64 v[56:57], v99 offset:14280
	ds_read_b64 v[114:115], v132
	ds_read_b64 v[104:105], v131
	;; [unrolled: 1-line block ×3, first 2 shown]
	v_add_u32_e32 v80, 0x2000, v99
	global_load_dwordx4 v[60:63], v[70:71], off offset:32
	global_load_dwordx4 v[64:67], v[70:71], off offset:16
	v_add_u32_e32 v48, 0x1000, v99
	global_load_dwordx4 v[68:71], v[68:69], off offset:3248
	v_mul_u32_u24_e32 v88, 3, v98
	ds_read2_b64 v[72:75], v72 offset0:29 offset1:148
	ds_read2_b64 v[76:79], v76 offset0:65 offset1:184
	;; [unrolled: 1-line block ×4, first 2 shown]
	v_lshlrev_b32_e32 v48, 4, v88
	v_lshl_add_u64 v[88:89], s[4:5], 0, v[48:49]
	v_add_co_u32_e32 v108, vcc, s2, v88
	v_lshl_add_u64 v[106:107], v[88:89], 0, s[0:1]
	s_nop 0
	v_addc_co_u32_e32 v109, vcc, 0, v89, vcc
	global_load_dwordx4 v[88:91], v[108:109], off offset:3248
	global_load_dwordx4 v[92:95], v[106:107], off offset:32
	;; [unrolled: 1-line block ×3, first 2 shown]
	s_movk_i32 s0, 0x3000
	s_movk_i32 s3, 0x2000
	;; [unrolled: 1-line block ×3, first 2 shown]
	s_mov_b32 s4, 0x44d72045
	s_movk_i32 s5, 0x594
	s_waitcnt vmcnt(11) lgkmcnt(7)
	v_mul_f64 v[108:109], v[56:57], v[26:27]
	s_waitcnt vmcnt(10)
	v_mul_f64 v[106:107], v[4:5], v[34:35]
	s_waitcnt lgkmcnt(3)
	v_mul_f64 v[34:35], v[72:73], v[34:35]
	v_mul_f64 v[26:27], v[58:59], v[26:27]
	v_fmac_f64_e32 v[106:107], v[72:73], v[32:33]
	s_waitcnt vmcnt(9) lgkmcnt(2)
	v_mul_f64 v[72:73], v[76:77], v[30:31]
	v_mul_f64 v[30:31], v[8:9], v[30:31]
	v_fma_f64 v[4:5], v[4:5], v[32:33], -v[34:35]
	v_fmac_f64_e32 v[26:27], v[24:25], v[56:57]
	v_fmac_f64_e32 v[30:31], v[28:29], v[76:77]
	v_fma_f64 v[58:59], v[58:59], v[24:25], -v[108:109]
	v_fma_f64 v[8:9], v[8:9], v[28:29], -v[72:73]
	v_add_f64 v[4:5], v[54:55], -v[4:5]
	v_add_f64 v[34:35], v[30:31], -v[26:27]
	;; [unrolled: 1-line block ×5, first 2 shown]
	v_fma_f64 v[54:55], v[54:55], 2.0, -v[4:5]
	v_add_f64 v[26:27], v[32:33], v[28:29]
	v_fma_f64 v[8:9], v[8:9], 2.0, -v[28:29]
	v_fma_f64 v[28:29], v[4:5], 2.0, -v[24:25]
	v_add_u32_e32 v4, 0x3000, v99
	v_fma_f64 v[56:57], v[104:105], 2.0, -v[32:33]
	ds_read2_b64 v[104:107], v4 offset0:11 offset1:130
	s_waitcnt vmcnt(8)
	v_mul_f64 v[108:109], v[22:23], v[42:43]
	v_fma_f64 v[34:35], v[30:31], 2.0, -v[34:35]
	v_fma_f64 v[30:31], v[32:33], 2.0, -v[26:27]
	v_add_f64 v[32:33], v[54:55], -v[8:9]
	s_waitcnt vmcnt(7) lgkmcnt(1)
	v_mul_f64 v[8:9], v[86:87], v[46:47]
	s_waitcnt vmcnt(6) lgkmcnt(0)
	v_mul_f64 v[58:59], v[106:107], v[38:39]
	v_fmac_f64_e32 v[108:109], v[82:83], v[40:41]
	v_fma_f64 v[8:9], v[14:15], v[44:45], -v[8:9]
	v_fma_f64 v[58:59], v[18:19], v[36:37], -v[58:59]
	v_mul_f64 v[14:15], v[14:15], v[46:47]
	v_mul_f64 v[18:19], v[18:19], v[38:39]
	v_add_f64 v[4:5], v[116:117], -v[108:109]
	v_add_f64 v[58:59], v[8:9], -v[58:59]
	v_fmac_f64_e32 v[14:15], v[44:45], v[86:87]
	v_fmac_f64_e32 v[18:19], v[36:37], v[106:107]
	v_add_f64 v[108:109], v[4:5], v[58:59]
	v_mul_f64 v[42:43], v[82:83], v[42:43]
	v_add_f64 v[18:19], v[14:15], -v[18:19]
	v_fma_f64 v[112:113], v[4:5], 2.0, -v[108:109]
	v_fma_f64 v[22:23], v[22:23], v[40:41], -v[42:43]
	v_fma_f64 v[4:5], v[116:117], 2.0, -v[4:5]
	v_fma_f64 v[14:15], v[14:15], 2.0, -v[18:19]
	v_add_f64 v[22:23], v[52:53], -v[22:23]
	v_add_f64 v[38:39], v[4:5], -v[14:15]
	ds_read2_b64 v[44:47], v99 offset1:119
	v_add_f64 v[106:107], v[22:23], -v[18:19]
	v_fma_f64 v[42:43], v[4:5], 2.0, -v[38:39]
	v_fma_f64 v[4:5], v[52:53], 2.0, -v[22:23]
	;; [unrolled: 1-line block ×4, first 2 shown]
	v_add_f64 v[36:37], v[4:5], -v[8:9]
	s_waitcnt vmcnt(3)
	v_mul_f64 v[8:9], v[84:85], v[70:71]
	v_mul_f64 v[22:23], v[80:81], v[66:67]
	v_fma_f64 v[40:41], v[4:5], 2.0, -v[36:37]
	v_mul_f64 v[4:5], v[20:21], v[66:67]
	v_fma_f64 v[8:9], v[12:13], v[68:69], -v[8:9]
	v_mul_f64 v[14:15], v[104:105], v[62:63]
	v_fma_f64 v[20:21], v[20:21], v[64:65], -v[22:23]
	v_mul_f64 v[22:23], v[12:13], v[70:71]
	v_mul_f64 v[12:13], v[16:17], v[62:63]
	v_fmac_f64_e32 v[4:5], v[80:81], v[64:65]
	v_fma_f64 v[14:15], v[16:17], v[60:61], -v[14:15]
	v_fmac_f64_e32 v[22:23], v[68:69], v[84:85]
	v_fmac_f64_e32 v[12:13], v[60:61], v[104:105]
	s_waitcnt lgkmcnt(0)
	v_add_f64 v[4:5], v[46:47], -v[4:5]
	v_add_f64 v[52:53], v[8:9], -v[14:15]
	v_add_f64 v[20:21], v[2:3], -v[20:21]
	v_add_f64 v[58:59], v[22:23], -v[12:13]
	v_add_f64 v[14:15], v[4:5], v[52:53]
	v_add_f64 v[12:13], v[20:21], -v[58:59]
	v_fma_f64 v[18:19], v[4:5], 2.0, -v[14:15]
	v_fma_f64 v[16:17], v[20:21], 2.0, -v[12:13]
	;; [unrolled: 1-line block ×6, first 2 shown]
	s_waitcnt vmcnt(0)
	v_mul_f64 v[8:9], v[10:11], v[102:103]
	v_add_f64 v[4:5], v[46:47], -v[4:5]
	v_fmac_f64_e32 v[8:9], v[78:79], v[100:101]
	v_fma_f64 v[22:23], v[46:47], 2.0, -v[4:5]
	v_add_f64 v[46:47], v[44:45], -v[8:9]
	v_mul_f64 v[8:9], v[114:115], v[90:91]
	v_fma_f64 v[58:59], v[50:51], v[88:89], -v[8:9]
	v_mul_f64 v[8:9], v[74:75], v[94:95]
	v_mul_f64 v[60:61], v[78:79], v[102:103]
	v_fma_f64 v[8:9], v[6:7], v[92:93], -v[8:9]
	v_fma_f64 v[10:11], v[10:11], v[100:101], -v[60:61]
	v_mul_f64 v[60:61], v[50:51], v[90:91]
	v_mul_f64 v[6:7], v[6:7], v[94:95]
	v_add_f64 v[62:63], v[58:59], -v[8:9]
	v_fmac_f64_e32 v[60:61], v[88:89], v[114:115]
	v_fmac_f64_e32 v[6:7], v[92:93], v[74:75]
	v_add_f64 v[8:9], v[46:47], v[62:63]
	v_add_f64 v[10:11], v[0:1], -v[10:11]
	v_add_f64 v[64:65], v[60:61], -v[6:7]
	v_fma_f64 v[52:53], v[46:47], 2.0, -v[8:9]
	v_add_f64 v[6:7], v[10:11], -v[64:65]
	v_fma_f64 v[44:45], v[44:45], 2.0, -v[46:47]
	v_fma_f64 v[46:47], v[60:61], 2.0, -v[64:65]
	;; [unrolled: 1-line block ×3, first 2 shown]
	v_add_f64 v[46:47], v[44:45], -v[46:47]
	v_fma_f64 v[0:1], v[0:1], 2.0, -v[10:11]
	v_fma_f64 v[10:11], v[58:59], 2.0, -v[62:63]
	;; [unrolled: 1-line block ×3, first 2 shown]
	v_add_f64 v[44:45], v[0:1], -v[10:11]
	v_mov_b32_e32 v99, v49
	v_fma_f64 v[58:59], v[0:1], 2.0, -v[44:45]
	v_lshl_add_u64 v[0:1], v[98:99], 4, v[96:97]
	v_add_co_u32_e32 v10, vcc, s2, v0
	v_add_f64 v[2:3], v[20:21], -v[2:3]
	s_nop 0
	v_addc_co_u32_e32 v11, vcc, 0, v1, vcc
	global_store_dwordx4 v[10:11], v[50:53], off offset:3520
	v_add_co_u32_e32 v10, vcc, s0, v0
	s_movk_i32 s0, 0x5000
	s_nop 0
	v_addc_co_u32_e32 v11, vcc, 0, v1, vcc
	global_store_dwordx4 v[10:11], v[44:47], off offset:2944
	v_add_co_u32_e32 v10, vcc, s0, v0
	v_fma_f64 v[20:21], v[20:21], 2.0, -v[2:3]
	s_nop 0
	v_addc_co_u32_e32 v11, vcc, 0, v1, vcc
	global_store_dwordx4 v[0:1], v[58:61], off
	global_store_dwordx4 v[10:11], v[6:9], off offset:2368
	global_store_dwordx4 v[0:1], v[20:23], off offset:1904
	s_movk_i32 s0, 0x4000
	v_add_co_u32_e32 v6, vcc, s3, v0
	v_add_f64 v[34:35], v[56:57], -v[34:35]
	s_nop 0
	v_addc_co_u32_e32 v7, vcc, 0, v1, vcc
	global_store_dwordx4 v[6:7], v[16:19], off offset:1328
	v_add_co_u32_e32 v6, vcc, s0, v0
	v_fma_f64 v[56:57], v[56:57], 2.0, -v[34:35]
	s_nop 0
	v_addc_co_u32_e32 v7, vcc, 0, v1, vcc
	global_store_dwordx4 v[6:7], v[2:5], off offset:752
	v_fma_f64 v[54:55], v[54:55], 2.0, -v[32:33]
	s_nop 0
	v_add_co_u32_e32 v2, vcc, s1, v0
	s_nop 1
	v_addc_co_u32_e32 v3, vcc, 0, v1, vcc
	global_store_dwordx4 v[2:3], v[12:15], off offset:176
	v_add_u32_e32 v2, 0xee, v98
	v_mul_hi_u32 v2, v2, s4
	v_lshrrev_b32_e32 v2, 7, v2
	v_mul_u32_u24_e32 v48, 0x594, v2
	v_lshl_add_u64 v[0:1], v[48:49], 4, v[0:1]
	v_add_co_u32_e32 v2, vcc, s3, v0
	global_store_dwordx4 v[0:1], v[40:43], off offset:3808
	s_nop 0
	v_addc_co_u32_e32 v3, vcc, 0, v1, vcc
	global_store_dwordx4 v[2:3], v[110:113], off offset:3232
	v_add_co_u32_e32 v2, vcc, s0, v0
	s_nop 1
	v_addc_co_u32_e32 v3, vcc, 0, v1, vcc
	v_add_co_u32_e32 v0, vcc, s1, v0
	global_store_dwordx4 v[2:3], v[36:39], off offset:2656
	s_nop 0
	v_addc_co_u32_e32 v1, vcc, 0, v1, vcc
	global_store_dwordx4 v[0:1], v[106:109], off offset:2080
	v_add_u32_e32 v0, 0x165, v98
	v_mul_hi_u32 v1, v0, s4
	v_lshrrev_b32_e32 v1, 7, v1
	v_mad_u32_u24 v48, v1, s5, v0
	v_lshl_add_u64 v[0:1], v[48:49], 4, v[96:97]
	v_add_co_u32_e32 v2, vcc, s2, v0
	global_store_dwordx4 v[0:1], v[54:57], off
	s_nop 0
	v_addc_co_u32_e32 v3, vcc, 0, v1, vcc
	global_store_dwordx4 v[2:3], v[28:31], off offset:3520
	v_add_co_u32_e32 v2, vcc, 0x3000, v0
	s_nop 1
	v_addc_co_u32_e32 v3, vcc, 0, v1, vcc
	v_add_co_u32_e32 v0, vcc, 0x5000, v0
	global_store_dwordx4 v[2:3], v[32:35], off offset:2944
	s_nop 0
	v_addc_co_u32_e32 v1, vcc, 0, v1, vcc
	global_store_dwordx4 v[0:1], v[24:27], off offset:2368
.LBB0_25:
	s_endpgm
	.section	.rodata,"a",@progbits
	.p2align	6, 0x0
	.amdhsa_kernel fft_rtc_fwd_len1904_factors_17_2_2_7_4_wgs_119_tpt_119_halfLds_dp_ip_CI_unitstride_sbrr_dirReg
		.amdhsa_group_segment_fixed_size 0
		.amdhsa_private_segment_fixed_size 0
		.amdhsa_kernarg_size 88
		.amdhsa_user_sgpr_count 2
		.amdhsa_user_sgpr_dispatch_ptr 0
		.amdhsa_user_sgpr_queue_ptr 0
		.amdhsa_user_sgpr_kernarg_segment_ptr 1
		.amdhsa_user_sgpr_dispatch_id 0
		.amdhsa_user_sgpr_kernarg_preload_length 0
		.amdhsa_user_sgpr_kernarg_preload_offset 0
		.amdhsa_user_sgpr_private_segment_size 0
		.amdhsa_uses_dynamic_stack 0
		.amdhsa_enable_private_segment 0
		.amdhsa_system_sgpr_workgroup_id_x 1
		.amdhsa_system_sgpr_workgroup_id_y 0
		.amdhsa_system_sgpr_workgroup_id_z 0
		.amdhsa_system_sgpr_workgroup_info 0
		.amdhsa_system_vgpr_workitem_id 0
		.amdhsa_next_free_vgpr 166
		.amdhsa_next_free_sgpr 54
		.amdhsa_accum_offset 168
		.amdhsa_reserve_vcc 1
		.amdhsa_float_round_mode_32 0
		.amdhsa_float_round_mode_16_64 0
		.amdhsa_float_denorm_mode_32 3
		.amdhsa_float_denorm_mode_16_64 3
		.amdhsa_dx10_clamp 1
		.amdhsa_ieee_mode 1
		.amdhsa_fp16_overflow 0
		.amdhsa_tg_split 0
		.amdhsa_exception_fp_ieee_invalid_op 0
		.amdhsa_exception_fp_denorm_src 0
		.amdhsa_exception_fp_ieee_div_zero 0
		.amdhsa_exception_fp_ieee_overflow 0
		.amdhsa_exception_fp_ieee_underflow 0
		.amdhsa_exception_fp_ieee_inexact 0
		.amdhsa_exception_int_div_zero 0
	.end_amdhsa_kernel
	.text
.Lfunc_end0:
	.size	fft_rtc_fwd_len1904_factors_17_2_2_7_4_wgs_119_tpt_119_halfLds_dp_ip_CI_unitstride_sbrr_dirReg, .Lfunc_end0-fft_rtc_fwd_len1904_factors_17_2_2_7_4_wgs_119_tpt_119_halfLds_dp_ip_CI_unitstride_sbrr_dirReg
                                        ; -- End function
	.section	.AMDGPU.csdata,"",@progbits
; Kernel info:
; codeLenInByte = 16332
; NumSgprs: 60
; NumVgprs: 166
; NumAgprs: 0
; TotalNumVgprs: 166
; ScratchSize: 0
; MemoryBound: 1
; FloatMode: 240
; IeeeMode: 1
; LDSByteSize: 0 bytes/workgroup (compile time only)
; SGPRBlocks: 7
; VGPRBlocks: 20
; NumSGPRsForWavesPerEU: 60
; NumVGPRsForWavesPerEU: 166
; AccumOffset: 168
; Occupancy: 3
; WaveLimiterHint : 1
; COMPUTE_PGM_RSRC2:SCRATCH_EN: 0
; COMPUTE_PGM_RSRC2:USER_SGPR: 2
; COMPUTE_PGM_RSRC2:TRAP_HANDLER: 0
; COMPUTE_PGM_RSRC2:TGID_X_EN: 1
; COMPUTE_PGM_RSRC2:TGID_Y_EN: 0
; COMPUTE_PGM_RSRC2:TGID_Z_EN: 0
; COMPUTE_PGM_RSRC2:TIDIG_COMP_CNT: 0
; COMPUTE_PGM_RSRC3_GFX90A:ACCUM_OFFSET: 41
; COMPUTE_PGM_RSRC3_GFX90A:TG_SPLIT: 0
	.text
	.p2alignl 6, 3212836864
	.fill 256, 4, 3212836864
	.type	__hip_cuid_f8de1b7a70ae244d,@object ; @__hip_cuid_f8de1b7a70ae244d
	.section	.bss,"aw",@nobits
	.globl	__hip_cuid_f8de1b7a70ae244d
__hip_cuid_f8de1b7a70ae244d:
	.byte	0                               ; 0x0
	.size	__hip_cuid_f8de1b7a70ae244d, 1

	.ident	"AMD clang version 19.0.0git (https://github.com/RadeonOpenCompute/llvm-project roc-6.4.0 25133 c7fe45cf4b819c5991fe208aaa96edf142730f1d)"
	.section	".note.GNU-stack","",@progbits
	.addrsig
	.addrsig_sym __hip_cuid_f8de1b7a70ae244d
	.amdgpu_metadata
---
amdhsa.kernels:
  - .agpr_count:     0
    .args:
      - .actual_access:  read_only
        .address_space:  global
        .offset:         0
        .size:           8
        .value_kind:     global_buffer
      - .offset:         8
        .size:           8
        .value_kind:     by_value
      - .actual_access:  read_only
        .address_space:  global
        .offset:         16
        .size:           8
        .value_kind:     global_buffer
      - .actual_access:  read_only
        .address_space:  global
        .offset:         24
        .size:           8
        .value_kind:     global_buffer
      - .offset:         32
        .size:           8
        .value_kind:     by_value
      - .actual_access:  read_only
        .address_space:  global
        .offset:         40
        .size:           8
        .value_kind:     global_buffer
      - .actual_access:  read_only
        .address_space:  global
        .offset:         48
        .size:           8
        .value_kind:     global_buffer
      - .offset:         56
        .size:           4
        .value_kind:     by_value
      - .actual_access:  read_only
        .address_space:  global
        .offset:         64
        .size:           8
        .value_kind:     global_buffer
      - .actual_access:  read_only
        .address_space:  global
        .offset:         72
        .size:           8
        .value_kind:     global_buffer
      - .address_space:  global
        .offset:         80
        .size:           8
        .value_kind:     global_buffer
    .group_segment_fixed_size: 0
    .kernarg_segment_align: 8
    .kernarg_segment_size: 88
    .language:       OpenCL C
    .language_version:
      - 2
      - 0
    .max_flat_workgroup_size: 119
    .name:           fft_rtc_fwd_len1904_factors_17_2_2_7_4_wgs_119_tpt_119_halfLds_dp_ip_CI_unitstride_sbrr_dirReg
    .private_segment_fixed_size: 0
    .sgpr_count:     60
    .sgpr_spill_count: 0
    .symbol:         fft_rtc_fwd_len1904_factors_17_2_2_7_4_wgs_119_tpt_119_halfLds_dp_ip_CI_unitstride_sbrr_dirReg.kd
    .uniform_work_group_size: 1
    .uses_dynamic_stack: false
    .vgpr_count:     166
    .vgpr_spill_count: 0
    .wavefront_size: 64
amdhsa.target:   amdgcn-amd-amdhsa--gfx950
amdhsa.version:
  - 1
  - 2
...

	.end_amdgpu_metadata
